;; amdgpu-corpus repo=ROCm/rocFFT kind=compiled arch=gfx950 opt=O3
	.text
	.amdgcn_target "amdgcn-amd-amdhsa--gfx950"
	.amdhsa_code_object_version 6
	.protected	bluestein_single_back_len1408_dim1_dp_op_CI_CI ; -- Begin function bluestein_single_back_len1408_dim1_dp_op_CI_CI
	.globl	bluestein_single_back_len1408_dim1_dp_op_CI_CI
	.p2align	8
	.type	bluestein_single_back_len1408_dim1_dp_op_CI_CI,@function
bluestein_single_back_len1408_dim1_dp_op_CI_CI: ; @bluestein_single_back_len1408_dim1_dp_op_CI_CI
; %bb.0:
	s_load_dwordx4 s[12:15], s[0:1], 0x28
	v_mul_u32_u24_e32 v1, 0x175, v0
	v_add_u32_sdwa v8, s2, v1 dst_sel:DWORD dst_unused:UNUSED_PAD src0_sel:DWORD src1_sel:WORD_1
	v_mov_b32_e32 v9, 0
	s_waitcnt lgkmcnt(0)
	v_cmp_gt_u64_e32 vcc, s[12:13], v[8:9]
	s_and_saveexec_b64 s[2:3], vcc
	s_cbranch_execz .LBB0_10
; %bb.1:
	s_load_dwordx4 s[4:7], s[0:1], 0x18
	s_load_dwordx4 s[8:11], s[0:1], 0x0
	v_mov_b32_e32 v2, s14
	v_mov_b32_e32 v3, s15
	s_movk_i32 s2, 0xb0
	s_waitcnt lgkmcnt(0)
	s_load_dwordx4 s[12:15], s[4:5], 0x0
	v_mul_lo_u16_sdwa v1, v1, s2 dst_sel:DWORD dst_unused:UNUSED_PAD src0_sel:WORD_1 src1_sel:DWORD
	v_sub_u16_e32 v144, v0, v1
	v_mov_b32_e32 v10, 0x2c00
	v_lshlrev_b32_e32 v140, 4, v144
	s_waitcnt lgkmcnt(0)
	v_mad_u64_u32 v[0:1], s[2:3], s14, v8, 0
	v_mov_b32_e32 v4, v1
	v_mad_u64_u32 v[4:5], s[2:3], s15, v8, v[4:5]
	v_mov_b32_e32 v1, v4
	v_mad_u64_u32 v[4:5], s[2:3], s12, v144, 0
	v_mov_b32_e32 v6, v5
	v_mad_u64_u32 v[6:7], s[2:3], s13, v144, v[6:7]
	v_mov_b32_e32 v5, v6
	v_lshl_add_u64 v[0:1], v[0:1], 4, v[2:3]
	v_lshl_add_u64 v[0:1], v[4:5], 4, v[0:1]
	global_load_dwordx4 v[32:35], v[0:1], off
	v_mov_b32_e32 v141, v9
	v_mad_u64_u32 v[0:1], s[2:3], s12, v10, v[0:1]
	v_lshl_add_u64 v[2:3], s[8:9], 0, v[140:141]
	s_mul_i32 s2, s13, 0x2c00
	s_movk_i32 s3, 0x2000
	v_add_u32_e32 v1, s2, v1
	v_add_co_u32_e32 v4, vcc, s3, v2
	v_mov_b32_e32 v11, 0xffffdf00
	s_mul_i32 s3, s13, 0xffffdf00
	v_mad_u64_u32 v[6:7], s[4:5], s12, v11, v[0:1]
	s_sub_i32 s3, s3, s12
	v_addc_co_u32_e32 v5, vcc, 0, v3, vcc
	v_add_u32_e32 v7, s3, v7
	global_load_dwordx4 v[12:15], v[4:5], off offset:3072
	global_load_dwordx4 v[36:39], v[0:1], off
	global_load_dwordx4 v[40:43], v[6:7], off
	global_load_dwordx4 v[66:69], v140, s[8:9]
	global_load_dwordx4 v[20:23], v140, s[8:9] offset:2816
	v_mad_u64_u32 v[0:1], s[4:5], s12, v10, v[6:7]
	v_add_u32_e32 v1, s2, v1
	s_movk_i32 s4, 0x3000
	v_accvgpr_write_b32 a14, v8
	v_add_co_u32_e32 v6, vcc, s4, v2
	v_mad_u64_u32 v[8:9], s[4:5], s12, v11, v[0:1]
	s_nop 0
	v_addc_co_u32_e32 v7, vcc, 0, v3, vcc
	s_movk_i32 s4, 0x1000
	v_add_u32_e32 v9, s3, v9
	global_load_dwordx4 v[44:47], v[0:1], off
	global_load_dwordx4 v[48:51], v[8:9], off
	v_add_co_u32_e32 v0, vcc, s4, v2
	v_lshlrev_b32_e32 v145, 5, v144
	s_nop 0
	v_addc_co_u32_e32 v1, vcc, 0, v3, vcc
	global_load_dwordx4 v[70:73], v[6:7], off offset:1792
	global_load_dwordx4 v[16:19], v[0:1], off offset:1536
	v_mad_u64_u32 v[0:1], s[4:5], s12, v10, v[8:9]
	s_movk_i32 s4, 0x4000
	s_nop 0
	v_add_co_u32_e32 v2, vcc, s4, v2
	v_add_u32_e32 v1, s2, v1
	s_nop 0
	v_addc_co_u32_e32 v3, vcc, 0, v3, vcc
	global_load_dwordx4 v[52:55], v[0:1], off
	global_load_dwordx4 v[6:9], v[2:3], off offset:512
	v_mad_u64_u32 v[0:1], s[4:5], s12, v11, v[0:1]
	v_add_u32_e32 v1, s3, v1
	global_load_dwordx4 v[56:59], v[0:1], off
	global_load_dwordx4 v[24:27], v[4:5], off offset:256
	v_mad_u64_u32 v[0:1], s[4:5], s12, v10, v[0:1]
	v_add_u32_e32 v1, s2, v1
	global_load_dwordx4 v[28:31], v[2:3], off offset:3328
	global_load_dwordx4 v[60:63], v[0:1], off
	s_load_dwordx4 s[4:7], s[6:7], 0x0
	v_lshlrev_b32_e32 v0, 1, v144
	v_add_u32_e32 v1, 0xb0, v144
	v_lshlrev_b32_e32 v146, 5, v1
	s_movk_i32 s2, 0x1fc
	s_movk_i32 s3, 0x3f0
	;; [unrolled: 1-line block ×5, first 2 shown]
                                        ; implicit-def: $vgpr128_vgpr129
                                        ; implicit-def: $vgpr132_vgpr133
                                        ; implicit-def: $vgpr136_vgpr137
	s_waitcnt vmcnt(11)
	v_mul_f64 v[64:65], v[34:35], v[68:69]
	v_mul_f64 v[2:3], v[32:33], v[68:69]
	v_accvgpr_write_b32 a28, v66
	v_fmac_f64_e32 v[64:65], v[32:33], v[66:67]
	v_accvgpr_write_b32 a29, v67
	v_accvgpr_write_b32 a30, v68
	;; [unrolled: 1-line block ×3, first 2 shown]
	v_fma_f64 v[66:67], v[34:35], v[66:67], -v[2:3]
	v_mul_f64 v[32:33], v[38:39], v[14:15]
	v_mul_f64 v[2:3], v[36:37], v[14:15]
	v_fmac_f64_e32 v[32:33], v[36:37], v[12:13]
	v_fma_f64 v[34:35], v[38:39], v[12:13], -v[2:3]
	ds_write_b128 v140, v[32:35] offset:11264
	s_waitcnt vmcnt(10)
	v_mul_f64 v[32:33], v[42:43], v[22:23]
	v_mul_f64 v[2:3], v[40:41], v[22:23]
	v_fmac_f64_e32 v[32:33], v[40:41], v[20:21]
	v_fma_f64 v[34:35], v[42:43], v[20:21], -v[2:3]
	ds_write_b128 v140, v[32:35] offset:2816
	ds_write_b128 v140, v[64:67]
	v_accvgpr_write_b32 a2, v12
	s_waitcnt vmcnt(7)
	v_mul_f64 v[32:33], v[46:47], v[72:73]
	v_mul_f64 v[2:3], v[44:45], v[72:73]
	v_fmac_f64_e32 v[32:33], v[44:45], v[70:71]
	v_fma_f64 v[34:35], v[46:47], v[70:71], -v[2:3]
	ds_write_b128 v140, v[32:35] offset:14080
	s_waitcnt vmcnt(6)
	v_mul_f64 v[32:33], v[50:51], v[18:19]
	v_mul_f64 v[2:3], v[48:49], v[18:19]
	v_fmac_f64_e32 v[32:33], v[48:49], v[16:17]
	v_fma_f64 v[34:35], v[50:51], v[16:17], -v[2:3]
	ds_write_b128 v140, v[32:35] offset:5632
	v_add_u32_e32 v48, 0x210, v144
	s_waitcnt vmcnt(4)
	v_mul_f64 v[32:33], v[54:55], v[8:9]
	v_mul_f64 v[2:3], v[52:53], v[8:9]
	v_fmac_f64_e32 v[32:33], v[52:53], v[6:7]
	v_fma_f64 v[34:35], v[54:55], v[6:7], -v[2:3]
	ds_write_b128 v140, v[32:35] offset:16896
	s_waitcnt vmcnt(2)
	v_mul_f64 v[32:33], v[58:59], v[26:27]
	v_mul_f64 v[2:3], v[56:57], v[26:27]
	v_fmac_f64_e32 v[32:33], v[56:57], v[24:25]
	v_fma_f64 v[34:35], v[58:59], v[24:25], -v[2:3]
	ds_write_b128 v140, v[32:35] offset:8448
	;; [unrolled: 6-line block ×3, first 2 shown]
	s_waitcnt lgkmcnt(0)
	s_barrier
	ds_read_b128 v[32:35], v140
	ds_read_b128 v[36:39], v140 offset:2816
	ds_read_b128 v[40:43], v140 offset:11264
	;; [unrolled: 1-line block ×7, first 2 shown]
	s_waitcnt lgkmcnt(5)
	v_add_f64 v[40:41], v[32:33], -v[40:41]
	v_add_f64 v[42:43], v[34:35], -v[42:43]
	s_waitcnt lgkmcnt(4)
	v_add_f64 v[44:45], v[36:37], -v[44:45]
	v_add_f64 v[46:47], v[38:39], -v[46:47]
	;; [unrolled: 3-line block ×3, first 2 shown]
	s_waitcnt lgkmcnt(0)
	v_add_f64 v[64:65], v[56:57], -v[64:65]
	v_fma_f64 v[32:33], v[32:33], 2.0, -v[40:41]
	v_fma_f64 v[34:35], v[34:35], 2.0, -v[42:43]
	;; [unrolled: 1-line block ×7, first 2 shown]
	v_add_u32_e32 v56, 0x2c0, v0
	v_lshlrev_b32_e32 v2, 4, v0
	v_accvgpr_write_b32 a3, v13
	v_accvgpr_write_b32 a4, v14
	v_accvgpr_write_b32 a5, v15
	v_add_f64 v[62:63], v[54:55], -v[62:63]
	s_barrier
	ds_write_b128 v145, v[32:35]
	ds_write_b128 v145, v[40:43] offset:16
	ds_write_b128 v145, v[36:39] offset:5632
	;; [unrolled: 1-line block ×3, first 2 shown]
	v_lshlrev_b32_e32 v147, 4, v56
	ds_write_b128 v2, v[50:53] offset:11264
	ds_write_b128 v147, v[58:61] offset:16
	v_lshlrev_b32_e32 v2, 5, v48
	v_and_b32_e32 v14, 1, v144
	v_fma_f64 v[66:67], v[54:55], 2.0, -v[62:63]
	v_accvgpr_write_b32 a38, v2
	ds_write_b128 v2, v[62:65] offset:16
	v_lshlrev_b32_e32 v2, 4, v14
	ds_write_b128 v145, v[66:69] offset:16896
	s_waitcnt lgkmcnt(0)
	s_barrier
	global_load_dwordx4 v[32:35], v2, s[10:11]
	ds_read_b128 v[36:39], v140 offset:11264
	ds_read_b128 v[40:43], v140 offset:14080
	;; [unrolled: 1-line block ×4, first 2 shown]
	v_accvgpr_write_b32 a13, v9
	v_accvgpr_write_b32 a12, v8
	;; [unrolled: 1-line block ×4, first 2 shown]
	ds_read_b128 v[58:61], v140 offset:5632
	ds_read_b128 v[62:65], v140 offset:8448
	v_lshlrev_b32_e32 v57, 1, v1
	v_accvgpr_write_b32 a32, v70
	v_accvgpr_write_b32 a33, v71
	;; [unrolled: 1-line block ×12, first 2 shown]
	v_and_b32_e32 v1, 31, v1
	v_accvgpr_write_b32 a20, v24
	v_accvgpr_write_b32 a24, v28
	v_accvgpr_write_b32 a21, v25
	v_accvgpr_write_b32 a22, v26
	v_accvgpr_write_b32 a23, v27
	v_accvgpr_write_b32 a25, v29
	v_accvgpr_write_b32 a26, v30
	v_accvgpr_write_b32 a27, v31
	s_waitcnt vmcnt(0) lgkmcnt(5)
	v_mul_f64 v[2:3], v[38:39], v[34:35]
	v_mul_f64 v[4:5], v[36:37], v[34:35]
	v_fma_f64 v[2:3], v[36:37], v[32:33], -v[2:3]
	v_fmac_f64_e32 v[4:5], v[38:39], v[32:33]
	ds_read_b128 v[36:39], v140
	s_waitcnt lgkmcnt(5)
	v_mul_f64 v[6:7], v[42:43], v[34:35]
	v_mul_f64 v[8:9], v[40:41], v[34:35]
	v_fma_f64 v[6:7], v[40:41], v[32:33], -v[6:7]
	v_fmac_f64_e32 v[8:9], v[42:43], v[32:33]
	ds_read_b128 v[40:43], v140 offset:2816
	s_waitcnt lgkmcnt(5)
	v_mul_f64 v[10:11], v[46:47], v[34:35]
	v_mul_f64 v[12:13], v[44:45], v[34:35]
	v_fma_f64 v[10:11], v[44:45], v[32:33], -v[10:11]
	v_fmac_f64_e32 v[12:13], v[46:47], v[32:33]
	s_waitcnt lgkmcnt(1)
	v_add_f64 v[44:45], v[36:37], -v[2:3]
	v_add_f64 v[46:47], v[38:39], -v[4:5]
	v_and_or_b32 v2, v0, s2, v14
	v_mul_f64 v[54:55], v[52:53], v[34:35]
	v_mul_f64 v[76:77], v[50:51], v[34:35]
	v_fma_f64 v[36:37], v[36:37], 2.0, -v[44:45]
	v_fma_f64 v[38:39], v[38:39], 2.0, -v[46:47]
	v_lshlrev_b32_e32 v2, 4, v2
	s_movk_i32 s2, 0x3fc
	v_fma_f64 v[54:55], v[50:51], v[32:33], -v[54:55]
	v_fmac_f64_e32 v[76:77], v[52:53], v[32:33]
	s_waitcnt lgkmcnt(0)
	v_add_f64 v[50:51], v[40:41], -v[6:7]
	v_add_f64 v[52:53], v[42:43], -v[8:9]
	s_barrier
	ds_write_b128 v2, v[36:39]
	v_accvgpr_write_b32 a39, v2
	ds_write_b128 v2, v[44:47] offset:32
	v_and_or_b32 v2, v57, s2, v14
	v_fma_f64 v[40:41], v[40:41], 2.0, -v[50:51]
	v_fma_f64 v[42:43], v[42:43], 2.0, -v[52:53]
	v_lshlrev_b32_e32 v2, 4, v2
	s_movk_i32 s2, 0x7fc
	v_add_f64 v[66:67], v[58:59], -v[10:11]
	v_add_f64 v[68:69], v[60:61], -v[12:13]
	ds_write_b128 v2, v[40:43]
	v_accvgpr_write_b32 a40, v2
	ds_write_b128 v2, v[50:53] offset:32
	v_and_or_b32 v2, v56, s2, v14
	v_fma_f64 v[70:71], v[58:59], 2.0, -v[66:67]
	v_fma_f64 v[72:73], v[60:61], 2.0, -v[68:69]
	v_lshlrev_b32_e32 v58, 1, v48
	v_lshlrev_b32_e32 v2, 4, v2
	v_add_f64 v[74:75], v[62:63], -v[54:55]
	v_add_f64 v[76:77], v[64:65], -v[76:77]
	ds_write_b128 v2, v[70:73]
	v_accvgpr_write_b32 a41, v2
	ds_write_b128 v2, v[66:69] offset:32
	v_and_or_b32 v2, v58, s2, v14
	v_fma_f64 v[60:61], v[62:63], 2.0, -v[74:75]
	v_fma_f64 v[62:63], v[64:65], 2.0, -v[76:77]
	v_lshlrev_b32_e32 v2, 4, v2
	v_and_b32_e32 v14, 3, v144
	ds_write_b128 v2, v[60:63]
	v_accvgpr_write_b32 a42, v2
	ds_write_b128 v2, v[74:77] offset:32
	v_lshlrev_b32_e32 v2, 4, v14
	s_waitcnt lgkmcnt(0)
	s_barrier
	global_load_dwordx4 v[36:39], v2, s[10:11] offset:32
	ds_read_b128 v[40:43], v140 offset:11264
	ds_read_b128 v[44:47], v140 offset:14080
	ds_read_b128 v[50:53], v140 offset:16896
	ds_read_b128 v[60:63], v140 offset:19712
	ds_read_b128 v[64:67], v140
	ds_read_b128 v[68:71], v140 offset:2816
	ds_read_b128 v[72:75], v140 offset:5632
	;; [unrolled: 1-line block ×3, first 2 shown]
	s_movk_i32 s2, 0x1f8
	s_waitcnt lgkmcnt(0)
	s_barrier
	s_waitcnt vmcnt(0)
	v_mul_f64 v[2:3], v[42:43], v[38:39]
	v_mul_f64 v[4:5], v[40:41], v[38:39]
	v_fma_f64 v[2:3], v[40:41], v[36:37], -v[2:3]
	v_fmac_f64_e32 v[4:5], v[42:43], v[36:37]
	v_mul_f64 v[6:7], v[46:47], v[38:39]
	v_mul_f64 v[8:9], v[44:45], v[38:39]
	;; [unrolled: 1-line block ×4, first 2 shown]
	v_add_f64 v[40:41], v[64:65], -v[2:3]
	v_add_f64 v[42:43], v[66:67], -v[4:5]
	v_and_or_b32 v2, v0, s2, v14
	v_fma_f64 v[6:7], v[44:45], v[36:37], -v[6:7]
	v_fmac_f64_e32 v[8:9], v[46:47], v[36:37]
	v_fma_f64 v[54:55], v[60:61], v[36:37], -v[54:55]
	v_fmac_f64_e32 v[80:81], v[62:63], v[36:37]
	v_fma_f64 v[60:61], v[64:65], 2.0, -v[40:41]
	v_fma_f64 v[62:63], v[66:67], 2.0, -v[42:43]
	v_lshlrev_b32_e32 v2, 4, v2
	s_movk_i32 s2, 0x3f8
	v_mul_f64 v[10:11], v[52:53], v[38:39]
	v_mul_f64 v[12:13], v[50:51], v[38:39]
	v_add_f64 v[44:45], v[68:69], -v[6:7]
	v_add_f64 v[46:47], v[70:71], -v[8:9]
	ds_write_b128 v2, v[60:63]
	v_accvgpr_write_b32 a43, v2
	ds_write_b128 v2, v[40:43] offset:64
	v_and_or_b32 v2, v57, s2, v14
	v_fma_f64 v[10:11], v[50:51], v[36:37], -v[10:11]
	v_fmac_f64_e32 v[12:13], v[52:53], v[36:37]
	v_fma_f64 v[64:65], v[68:69], 2.0, -v[44:45]
	v_fma_f64 v[66:67], v[70:71], 2.0, -v[46:47]
	v_lshlrev_b32_e32 v2, 4, v2
	s_movk_i32 s2, 0x7f8
	v_add_f64 v[50:51], v[72:73], -v[10:11]
	v_add_f64 v[52:53], v[74:75], -v[12:13]
	ds_write_b128 v2, v[64:67]
	v_accvgpr_write_b32 a44, v2
	ds_write_b128 v2, v[44:47] offset:64
	v_and_or_b32 v2, v56, s2, v14
	v_fma_f64 v[68:69], v[72:73], 2.0, -v[50:51]
	v_fma_f64 v[70:71], v[74:75], 2.0, -v[52:53]
	v_lshlrev_b32_e32 v2, 4, v2
	v_add_f64 v[72:73], v[76:77], -v[54:55]
	v_add_f64 v[74:75], v[78:79], -v[80:81]
	ds_write_b128 v2, v[68:71]
	v_accvgpr_write_b32 a45, v2
	ds_write_b128 v2, v[50:53] offset:64
	v_and_or_b32 v2, v58, s2, v14
	v_fma_f64 v[76:77], v[76:77], 2.0, -v[72:73]
	v_fma_f64 v[78:79], v[78:79], 2.0, -v[74:75]
	v_lshlrev_b32_e32 v2, 4, v2
	v_and_b32_e32 v14, 7, v144
	ds_write_b128 v2, v[76:79]
	v_accvgpr_write_b32 a46, v2
	ds_write_b128 v2, v[72:75] offset:64
	v_lshlrev_b32_e32 v2, 4, v14
	s_waitcnt lgkmcnt(0)
	s_barrier
	global_load_dwordx4 v[40:43], v2, s[10:11] offset:96
	s_movk_i32 s2, 0x1f0
	v_and_or_b32 v2, v0, s2, v14
	ds_read_b128 v[44:47], v140 offset:11264
	ds_read_b128 v[50:53], v140 offset:14080
	;; [unrolled: 1-line block ×4, first 2 shown]
	ds_read_b128 v[68:71], v140
	ds_read_b128 v[72:75], v140 offset:2816
	ds_read_b128 v[76:79], v140 offset:5632
	;; [unrolled: 1-line block ×3, first 2 shown]
	v_lshlrev_b32_e32 v16, 4, v2
	v_and_or_b32 v2, v57, s3, v14
	v_lshlrev_b32_e32 v15, 4, v2
	s_movk_i32 s2, 0x7f0
	s_waitcnt lgkmcnt(0)
	s_barrier
	v_accvgpr_write_b32 a48, v16
	s_movk_i32 s3, 0x3e0
	v_accvgpr_write_b32 a47, v15
	s_waitcnt vmcnt(0)
	v_mul_f64 v[2:3], v[46:47], v[42:43]
	v_mul_f64 v[4:5], v[44:45], v[42:43]
	;; [unrolled: 1-line block ×6, first 2 shown]
	v_fma_f64 v[2:3], v[44:45], v[40:41], -v[2:3]
	v_fmac_f64_e32 v[4:5], v[46:47], v[40:41]
	v_fma_f64 v[10:11], v[60:61], v[40:41], -v[10:11]
	v_fmac_f64_e32 v[12:13], v[62:63], v[40:41]
	v_mul_f64 v[54:55], v[66:67], v[42:43]
	v_mul_f64 v[84:85], v[64:65], v[42:43]
	v_fma_f64 v[6:7], v[50:51], v[40:41], -v[6:7]
	v_fmac_f64_e32 v[8:9], v[52:53], v[40:41]
	v_add_f64 v[44:45], v[68:69], -v[2:3]
	v_add_f64 v[46:47], v[70:71], -v[4:5]
	;; [unrolled: 1-line block ×4, first 2 shown]
	v_and_or_b32 v2, v56, s2, v14
	v_fma_f64 v[54:55], v[64:65], v[40:41], -v[54:55]
	v_fmac_f64_e32 v[84:85], v[66:67], v[40:41]
	v_add_f64 v[50:51], v[72:73], -v[6:7]
	v_add_f64 v[52:53], v[74:75], -v[8:9]
	v_fma_f64 v[68:69], v[68:69], 2.0, -v[44:45]
	v_fma_f64 v[70:71], v[70:71], 2.0, -v[46:47]
	;; [unrolled: 1-line block ×4, first 2 shown]
	v_lshlrev_b32_e32 v2, 4, v2
	v_add_f64 v[64:65], v[80:81], -v[54:55]
	v_add_f64 v[66:67], v[82:83], -v[84:85]
	v_fma_f64 v[72:73], v[72:73], 2.0, -v[50:51]
	v_fma_f64 v[74:75], v[74:75], 2.0, -v[52:53]
	ds_write_b128 v16, v[44:47] offset:128
	ds_write_b128 v16, v[68:71]
	ds_write_b128 v15, v[72:75]
	ds_write_b128 v15, v[50:53] offset:128
	ds_write_b128 v2, v[76:79]
	v_accvgpr_write_b32 a49, v2
	ds_write_b128 v2, v[60:63] offset:128
	v_and_or_b32 v2, v58, s2, v14
	v_fma_f64 v[80:81], v[80:81], 2.0, -v[64:65]
	v_fma_f64 v[82:83], v[82:83], 2.0, -v[66:67]
	v_lshlrev_b32_e32 v2, 4, v2
	ds_write_b128 v2, v[80:83]
	v_accvgpr_write_b32 a50, v2
	ds_write_b128 v2, v[64:67] offset:128
	v_and_b32_e32 v2, 15, v144
	v_lshlrev_b32_e32 v3, 4, v2
	s_waitcnt lgkmcnt(0)
	s_barrier
	global_load_dwordx4 v[44:47], v3, s[10:11] offset:224
	s_movk_i32 s2, 0x1e0
	v_and_or_b32 v3, v0, s2, v2
	v_and_b32_e32 v16, 31, v48
	ds_read_b128 v[48:51], v140 offset:11264
	ds_read_b128 v[52:55], v140 offset:14080
	;; [unrolled: 1-line block ×4, first 2 shown]
	ds_read_b128 v[68:71], v140
	ds_read_b128 v[72:75], v140 offset:2816
	ds_read_b128 v[76:79], v140 offset:5632
	;; [unrolled: 1-line block ×3, first 2 shown]
	v_lshlrev_b32_e32 v20, 4, v3
	v_and_or_b32 v3, v57, s3, v2
	v_and_or_b32 v4, v56, s12, v2
	;; [unrolled: 1-line block ×3, first 2 shown]
	v_lshlrev_b32_e32 v19, 4, v3
	v_lshlrev_b32_e32 v18, 4, v4
	;; [unrolled: 1-line block ×3, first 2 shown]
	v_and_b32_e32 v14, 31, v144
	v_lshlrev_b32_e32 v15, 4, v14
	s_waitcnt lgkmcnt(0)
	s_barrier
	v_accvgpr_write_b32 a61, v19
	v_accvgpr_write_b32 a60, v18
	;; [unrolled: 1-line block ×3, first 2 shown]
	s_movk_i32 s12, 0x3c0
	s_load_dwordx2 s[2:3], s[0:1], 0x38
	v_and_or_b32 v0, v0, s13, v14
	v_accvgpr_write_b32 a51, v17
	s_movk_i32 s0, 0x80
	v_cmp_gt_u16_e32 vcc, s0, v144
	s_waitcnt vmcnt(0)
	v_mul_f64 v[2:3], v[50:51], v[46:47]
	v_mul_f64 v[4:5], v[48:49], v[46:47]
	;; [unrolled: 1-line block ×8, first 2 shown]
	v_fma_f64 v[2:3], v[48:49], v[44:45], -v[2:3]
	v_fmac_f64_e32 v[4:5], v[50:51], v[44:45]
	v_fma_f64 v[6:7], v[52:53], v[44:45], -v[6:7]
	v_fmac_f64_e32 v[8:9], v[54:55], v[44:45]
	;; [unrolled: 2-line block ×4, first 2 shown]
	v_add_f64 v[48:49], v[68:69], -v[2:3]
	v_add_f64 v[50:51], v[70:71], -v[4:5]
	v_add_f64 v[52:53], v[72:73], -v[6:7]
	v_add_f64 v[54:55], v[74:75], -v[8:9]
	v_add_f64 v[60:61], v[76:77], -v[10:11]
	v_add_f64 v[62:63], v[78:79], -v[12:13]
	v_add_f64 v[64:65], v[80:81], -v[64:65]
	v_add_f64 v[66:67], v[82:83], -v[86:87]
	v_fma_f64 v[68:69], v[68:69], 2.0, -v[48:49]
	v_fma_f64 v[70:71], v[70:71], 2.0, -v[50:51]
	v_lshlrev_b32_e32 v2, 4, v16
	v_fma_f64 v[72:73], v[72:73], 2.0, -v[52:53]
	v_fma_f64 v[74:75], v[74:75], 2.0, -v[54:55]
	;; [unrolled: 1-line block ×6, first 2 shown]
	ds_write_b128 v20, v[48:51] offset:256
	ds_write_b128 v20, v[68:71]
	ds_write_b128 v19, v[72:75]
	ds_write_b128 v19, v[52:55] offset:256
	ds_write_b128 v18, v[76:79]
	ds_write_b128 v18, v[60:63] offset:256
	;; [unrolled: 2-line block ×3, first 2 shown]
	s_waitcnt lgkmcnt(0)
	s_barrier
	global_load_dwordx4 v[48:51], v15, s[10:11] offset:480
	global_load_dwordx4 v[52:55], v2, s[10:11] offset:480
	global_load_dwordx2 v[18:19], v2, s[10:11] offset:488
	v_lshlrev_b32_e32 v2, 4, v1
	global_load_dwordx2 v[20:21], v2, s[10:11] offset:480
	v_and_or_b32 v1, v57, s12, v1
	v_and_or_b32 v2, v56, s14, v14
	;; [unrolled: 1-line block ×3, first 2 shown]
	ds_read_b128 v[56:59], v140 offset:11264
	ds_read_b128 v[60:63], v140 offset:14080
	;; [unrolled: 1-line block ×4, first 2 shown]
	ds_read_b128 v[72:75], v140
	ds_read_b128 v[76:79], v140 offset:2816
	ds_read_b128 v[80:83], v140 offset:5632
	;; [unrolled: 1-line block ×3, first 2 shown]
	v_lshlrev_b32_e32 v17, 4, v0
	v_lshlrev_b32_e32 v16, 4, v1
	;; [unrolled: 1-line block ×4, first 2 shown]
	v_accvgpr_write_b32 a75, v17
	v_accvgpr_write_b32 a74, v16
	;; [unrolled: 1-line block ×4, first 2 shown]
	s_waitcnt lgkmcnt(0)
	s_barrier
	s_waitcnt vmcnt(3)
	v_mul_f64 v[0:1], v[58:59], v[50:51]
	v_mul_f64 v[2:3], v[56:57], v[50:51]
	s_waitcnt vmcnt(2)
	v_mul_f64 v[4:5], v[62:63], v[54:55]
	v_mul_f64 v[6:7], v[60:61], v[54:55]
	;; [unrolled: 1-line block ×4, first 2 shown]
	s_waitcnt vmcnt(1)
	v_mul_f64 v[12:13], v[70:71], v[18:19]
	v_mul_f64 v[88:89], v[68:69], v[18:19]
	v_fma_f64 v[0:1], v[56:57], v[48:49], -v[0:1]
	v_fmac_f64_e32 v[2:3], v[58:59], v[48:49]
	s_waitcnt vmcnt(0)
	v_fma_f64 v[4:5], v[60:61], v[20:21], -v[4:5]
	v_fmac_f64_e32 v[6:7], v[62:63], v[20:21]
	v_fma_f64 v[8:9], v[64:65], v[48:49], -v[8:9]
	v_fmac_f64_e32 v[10:11], v[66:67], v[48:49]
	;; [unrolled: 2-line block ×3, first 2 shown]
	v_accvgpr_write_b32 a53, v19
	v_accvgpr_write_b32 a59, v21
	v_add_f64 v[100:101], v[72:73], -v[0:1]
	v_add_f64 v[102:103], v[74:75], -v[2:3]
	;; [unrolled: 1-line block ×8, first 2 shown]
	v_accvgpr_write_b32 a52, v18
	v_accvgpr_write_b32 a58, v20
	v_fma_f64 v[96:97], v[72:73], 2.0, -v[100:101]
	v_fma_f64 v[98:99], v[74:75], 2.0, -v[102:103]
	v_fma_f64 v[104:105], v[76:77], 2.0, -v[108:109]
	v_fma_f64 v[106:107], v[78:79], 2.0, -v[110:111]
	v_fma_f64 v[112:113], v[80:81], 2.0, -v[116:117]
	v_fma_f64 v[114:115], v[82:83], 2.0, -v[118:119]
	v_fma_f64 v[120:121], v[84:85], 2.0, -v[124:125]
	v_fma_f64 v[122:123], v[86:87], 2.0, -v[126:127]
	ds_write_b128 v17, v[100:103] offset:512
	ds_write_b128 v17, v[96:99]
	ds_write_b128 v16, v[104:107]
	ds_write_b128 v16, v[108:111] offset:512
	ds_write_b128 v15, v[112:115]
	ds_write_b128 v15, v[116:119] offset:512
	;; [unrolled: 2-line block ×3, first 2 shown]
	s_waitcnt lgkmcnt(0)
	s_barrier
	s_and_saveexec_b64 s[0:1], vcc
	s_cbranch_execz .LBB0_3
; %bb.2:
	ds_read_b128 v[96:99], v140
	ds_read_b128 v[100:103], v140 offset:2048
	ds_read_b128 v[104:107], v140 offset:4096
	;; [unrolled: 1-line block ×10, first 2 shown]
.LBB0_3:
	s_or_b64 exec, exec, s[0:1]
	v_and_b32_e32 v2, 63, v144
	s_movk_i32 s0, 0xa0
	v_mov_b64_e32 v[0:1], s[10:11]
	v_mad_u64_u32 v[0:1], s[0:1], v2, s0, v[0:1]
	global_load_dwordx4 v[56:59], v[0:1], off offset:992
	global_load_dwordx4 v[60:63], v[0:1], off offset:1008
	;; [unrolled: 1-line block ×10, first 2 shown]
	s_mov_b32 s12, 0xf8bb580b
	v_accvgpr_write_b32 a1, v2
	s_mov_b32 s0, 0x8764f0ba
	s_mov_b32 s13, 0xbfe14ced
	;; [unrolled: 1-line block ×27, first 2 shown]
	v_mov_b32_e32 v141, 0
	s_waitcnt lgkmcnt(0)
	s_barrier
	s_waitcnt vmcnt(9)
	v_mul_f64 v[148:149], v[100:101], v[58:59]
	v_mul_f64 v[0:1], v[102:103], v[58:59]
	s_waitcnt vmcnt(8)
	v_mul_f64 v[150:151], v[104:105], v[62:63]
	v_fmac_f64_e32 v[148:149], v[102:103], v[56:57]
	v_mul_f64 v[2:3], v[106:107], v[62:63]
	v_fma_f64 v[100:101], v[100:101], v[56:57], -v[0:1]
	s_waitcnt vmcnt(3)
	v_mul_f64 v[160:161], v[124:125], v[86:87]
	s_waitcnt vmcnt(2)
	v_mul_f64 v[162:163], v[128:129], v[78:79]
	;; [unrolled: 2-line block ×4, first 2 shown]
	v_mul_f64 v[170:171], v[138:139], v[74:75]
	v_fmac_f64_e32 v[166:167], v[138:139], v[72:73]
	v_mul_f64 v[142:143], v[130:131], v[78:79]
	v_mul_f64 v[168:169], v[134:135], v[82:83]
	v_fmac_f64_e32 v[150:151], v[106:107], v[60:61]
	v_fmac_f64_e32 v[162:163], v[130:131], v[76:77]
	;; [unrolled: 1-line block ×3, first 2 shown]
	v_fma_f64 v[130:131], v[136:137], v[72:73], -v[170:171]
	v_add_f64 v[186:187], v[148:149], -v[166:167]
	v_mul_f64 v[152:153], v[108:109], v[66:67]
	v_mul_f64 v[12:13], v[126:127], v[86:87]
	v_fma_f64 v[102:103], v[104:105], v[60:61], -v[2:3]
	v_fmac_f64_e32 v[160:161], v[126:127], v[84:85]
	v_fma_f64 v[126:127], v[128:129], v[76:77], -v[142:143]
	v_fma_f64 v[128:129], v[132:133], v[80:81], -v[168:169]
	v_add_f64 v[172:173], v[100:101], v[130:131]
	v_add_f64 v[178:179], v[100:101], -v[130:131]
	v_add_f64 v[194:195], v[150:151], -v[164:165]
	v_mul_f64 v[132:133], v[186:187], s[12:13]
	v_mul_f64 v[4:5], v[110:111], v[66:67]
	;; [unrolled: 1-line block ×3, first 2 shown]
	v_fmac_f64_e32 v[152:153], v[110:111], v[64:65]
	v_add_f64 v[192:193], v[148:149], v[166:167]
	v_add_f64 v[180:181], v[102:103], v[128:129]
	v_add_f64 v[188:189], v[102:103], -v[128:129]
	v_mul_f64 v[136:137], v[178:179], s[12:13]
	v_mul_f64 v[134:135], v[194:195], s[18:19]
	v_fma_f64 v[0:1], s[0:1], v[172:173], v[132:133]
	v_mul_f64 v[154:155], v[112:113], v[70:71]
	v_fma_f64 v[104:105], v[108:109], v[64:65], -v[4:5]
	v_fma_f64 v[108:109], v[116:117], v[92:93], -v[8:9]
	v_add_f64 v[198:199], v[150:151], v[164:165]
	v_fma_f64 v[2:3], v[192:193], s[0:1], -v[136:137]
	v_add_f64 v[0:1], v[96:97], v[0:1]
	v_mul_f64 v[168:169], v[188:189], s[18:19]
	v_fma_f64 v[8:9], s[14:15], v[180:181], v[134:135]
	v_add_f64 v[214:215], v[152:153], -v[162:163]
	v_mul_f64 v[6:7], v[114:115], v[70:71]
	v_fmac_f64_e32 v[154:155], v[114:115], v[68:69]
	v_add_f64 v[2:3], v[98:99], v[2:3]
	v_add_f64 v[0:1], v[8:9], v[0:1]
	v_fma_f64 v[8:9], v[198:199], s[14:15], -v[168:169]
	v_add_f64 v[200:201], v[104:105], v[126:127]
	v_add_f64 v[204:205], v[104:105], -v[126:127]
	v_mul_f64 v[176:177], v[214:215], s[20:21]
	v_mul_f64 v[156:157], v[116:117], v[94:95]
	;; [unrolled: 1-line block ×3, first 2 shown]
	v_fma_f64 v[106:107], v[112:113], v[68:69], -v[6:7]
	v_fma_f64 v[124:125], v[124:125], v[84:85], -v[12:13]
	v_add_f64 v[2:3], v[8:9], v[2:3]
	v_add_f64 v[224:225], v[152:153], v[162:163]
	v_mul_f64 v[182:183], v[204:205], s[20:21]
	v_fma_f64 v[8:9], s[16:17], v[200:201], v[176:177]
	v_add_f64 v[230:231], v[154:155], -v[160:161]
	v_mul_f64 v[10:11], v[122:123], v[90:91]
	v_fmac_f64_e32 v[156:157], v[118:119], v[92:93]
	v_fmac_f64_e32 v[158:159], v[122:123], v[88:89]
	v_add_f64 v[0:1], v[8:9], v[0:1]
	v_fma_f64 v[8:9], v[224:225], s[16:17], -v[182:183]
	v_add_f64 v[210:211], v[106:107], v[124:125]
	v_add_f64 v[220:221], v[106:107], -v[124:125]
	v_mul_f64 v[184:185], v[230:231], s[26:27]
	v_fma_f64 v[110:111], v[120:121], v[88:89], -v[10:11]
	v_add_f64 v[2:3], v[8:9], v[2:3]
	v_add_f64 v[238:239], v[154:155], v[160:161]
	v_mul_f64 v[190:191], v[220:221], s[26:27]
	v_fma_f64 v[8:9], s[24:25], v[210:211], v[184:185]
	v_add_f64 v[248:249], v[156:157], -v[158:159]
	v_add_f64 v[0:1], v[8:9], v[0:1]
	v_fma_f64 v[8:9], v[238:239], s[24:25], -v[190:191]
	v_add_f64 v[226:227], v[108:109], v[110:111]
	v_add_f64 v[236:237], v[108:109], -v[110:111]
	v_mul_f64 v[196:197], v[248:249], s[34:35]
	v_mul_f64 v[138:139], v[186:187], s[18:19]
	v_add_f64 v[2:3], v[8:9], v[2:3]
	v_add_f64 v[142:143], v[156:157], v[158:159]
	v_mul_f64 v[202:203], v[236:237], s[34:35]
	v_fma_f64 v[8:9], s[28:29], v[226:227], v[196:197]
	v_mul_f64 v[170:171], v[178:179], s[18:19]
	v_fma_f64 v[4:5], s[14:15], v[172:173], v[138:139]
	v_mul_f64 v[174:175], v[194:195], s[26:27]
	v_add_f64 v[112:113], v[8:9], v[0:1]
	v_fma_f64 v[0:1], v[142:143], s[28:29], -v[202:203]
	v_fma_f64 v[6:7], v[192:193], s[14:15], -v[170:171]
	v_add_f64 v[4:5], v[96:97], v[4:5]
	v_add_f64 v[114:115], v[0:1], v[2:3]
	v_mul_f64 v[208:209], v[188:189], s[26:27]
	v_fma_f64 v[0:1], s[24:25], v[180:181], v[174:175]
	v_mul_f64 v[206:207], v[214:215], s[30:31]
	v_add_f64 v[6:7], v[98:99], v[6:7]
	v_add_f64 v[0:1], v[0:1], v[4:5]
	v_fma_f64 v[2:3], v[198:199], s[24:25], -v[208:209]
	v_fma_f64 v[4:5], s[28:29], v[200:201], v[206:207]
	v_mul_f64 v[216:217], v[204:205], s[30:31]
	v_add_f64 v[2:3], v[2:3], v[6:7]
	v_add_f64 v[0:1], v[4:5], v[0:1]
	v_fma_f64 v[4:5], v[224:225], s[28:29], -v[216:217]
	v_mul_f64 v[212:213], v[230:231], s[36:37]
	v_add_f64 v[2:3], v[4:5], v[2:3]
	v_fma_f64 v[4:5], s[16:17], v[210:211], v[212:213]
	v_mul_f64 v[222:223], v[220:221], s[36:37]
	v_add_f64 v[0:1], v[4:5], v[0:1]
	v_fma_f64 v[4:5], v[238:239], s[16:17], -v[222:223]
	v_mul_f64 v[218:219], v[248:249], s[40:41]
	v_add_f64 v[2:3], v[4:5], v[2:3]
	v_fma_f64 v[4:5], s[0:1], v[226:227], v[218:219]
	v_mul_f64 v[228:229], v[236:237], s[40:41]
	;; [unrolled: 6-line block ×3, first 2 shown]
	v_add_f64 v[0:1], v[96:97], v[0:1]
	v_fma_f64 v[2:3], s[28:29], v[180:181], v[234:235]
	v_mul_f64 v[242:243], v[178:179], s[20:21]
	v_add_f64 v[0:1], v[2:3], v[0:1]
	v_fma_f64 v[2:3], v[192:193], s[16:17], -v[242:243]
	v_mul_f64 v[244:245], v[188:189], s[30:31]
	v_add_f64 v[2:3], v[98:99], v[2:3]
	v_fma_f64 v[4:5], v[198:199], s[28:29], -v[244:245]
	v_mul_f64 v[240:241], v[214:215], s[38:39]
	v_add_f64 v[2:3], v[4:5], v[2:3]
	v_fma_f64 v[4:5], s[14:15], v[200:201], v[240:241]
	v_mul_f64 v[252:253], v[204:205], s[38:39]
	v_add_f64 v[0:1], v[4:5], v[0:1]
	v_fma_f64 v[4:5], v[224:225], s[14:15], -v[252:253]
	v_mul_f64 v[246:247], v[230:231], s[12:13]
	v_add_f64 v[2:3], v[4:5], v[2:3]
	v_fma_f64 v[4:5], s[0:1], v[210:211], v[246:247]
	;; [unrolled: 6-line block ×3, first 2 shown]
	v_add_f64 v[120:121], v[4:5], v[0:1]
	v_mul_f64 v[0:1], v[236:237], s[26:27]
	v_fma_f64 v[4:5], v[142:143], s[24:25], -v[0:1]
	v_add_f64 v[122:123], v[4:5], v[2:3]
	v_lshrrev_b32_e32 v2, 6, v144
	v_accvgpr_write_b32 a68, v2
	s_and_saveexec_b64 s[22:23], vcc
	s_cbranch_execz .LBB0_5
; %bb.4:
	v_mul_f64 v[2:3], v[172:173], s[0:1]
	v_accvgpr_write_b32 a85, v3
	v_accvgpr_write_b32 a84, v2
	v_mul_f64 v[2:3], v[192:193], s[0:1]
	v_accvgpr_write_b32 a89, v3
	v_accvgpr_write_b32 a88, v2
	;; [unrolled: 3-line block ×13, first 2 shown]
	v_accvgpr_write_b32 a73, v67
	v_accvgpr_write_b32 a81, v113
	;; [unrolled: 1-line block ×4, first 2 shown]
	v_mul_f64 v[114:115], v[192:193], s[28:29]
	v_accvgpr_write_b32 a104, v2
	v_mul_f64 v[2:3], v[226:227], s[28:29]
	v_accvgpr_write_b32 a72, v66
	v_accvgpr_write_b32 a71, v65
	;; [unrolled: 1-line block ×3, first 2 shown]
	v_mul_f64 v[66:67], v[198:199], s[0:1]
	v_fma_f64 v[30:31], s[30:31], v[178:179], v[114:115]
	v_accvgpr_write_b32 a101, v3
	v_mul_f64 v[10:11], v[224:225], s[24:25]
	s_mov_b32 s43, 0x3fe82f19
	s_mov_b32 s42, s26
	v_fma_f64 v[112:113], s[12:13], v[188:189], v[66:67]
	v_add_f64 v[30:31], v[98:99], v[30:31]
	v_accvgpr_write_b32 a54, v56
	v_accvgpr_write_b32 a100, v2
	v_mul_f64 v[2:3], v[142:143], s[28:29]
	v_mul_f64 v[8:9], v[238:239], s[14:15]
	v_fma_f64 v[12:13], s[42:43], v[204:205], v[10:11]
	v_add_f64 v[30:31], v[112:113], v[30:31]
	v_accvgpr_write_b32 a55, v57
	v_accvgpr_write_b32 a56, v58
	;; [unrolled: 1-line block ×6, first 2 shown]
	v_mul_f64 v[6:7], v[142:143], s[16:17]
	v_fma_f64 v[4:5], s[18:19], v[220:221], v[8:9]
	v_add_f64 v[12:13], v[12:13], v[30:31]
	v_mul_f64 v[58:59], v[186:187], s[34:35]
	v_fmac_f64_e32 v[114:115], s[34:35], v[178:179]
	v_accvgpr_write_b32 a78, v70
	v_accvgpr_write_b32 a77, v69
	;; [unrolled: 1-line block ×7, first 2 shown]
	v_fma_f64 v[2:3], s[36:37], v[236:237], v[6:7]
	v_add_f64 v[4:5], v[4:5], v[12:13]
	v_mul_f64 v[68:69], v[194:195], s[40:41]
	v_fma_f64 v[60:61], s[28:29], v[172:173], v[58:59]
	v_fmac_f64_e32 v[66:67], s[40:41], v[188:189]
	v_add_f64 v[114:115], v[98:99], v[114:115]
	v_add_f64 v[4:5], v[2:3], v[4:5]
	v_mul_f64 v[112:113], v[214:215], s[26:27]
	v_fma_f64 v[2:3], s[0:1], v[180:181], v[68:69]
	v_add_f64 v[60:61], v[96:97], v[60:61]
	v_fmac_f64_e32 v[10:11], s[26:27], v[204:205]
	v_add_f64 v[66:67], v[66:67], v[114:115]
	v_mul_f64 v[30:31], v[230:231], s[38:39]
	v_add_f64 v[2:3], v[2:3], v[60:61]
	v_fma_f64 v[60:61], s[24:25], v[200:201], v[112:113]
	v_fmac_f64_e32 v[8:9], s[38:39], v[220:221]
	v_add_f64 v[10:11], v[10:11], v[66:67]
	v_fma_f64 v[58:59], v[172:173], s[28:29], -v[58:59]
	v_mul_f64 v[12:13], v[248:249], s[20:21]
	v_add_f64 v[2:3], v[60:61], v[2:3]
	v_fma_f64 v[60:61], s[14:15], v[210:211], v[30:31]
	v_fmac_f64_e32 v[6:7], s[20:21], v[236:237]
	v_add_f64 v[8:9], v[8:9], v[10:11]
	v_fma_f64 v[10:11], v[210:211], s[14:15], -v[30:31]
	v_fma_f64 v[30:31], v[180:181], s[0:1], -v[68:69]
	v_add_f64 v[58:59], v[96:97], v[58:59]
	v_add_f64 v[2:3], v[60:61], v[2:3]
	v_fma_f64 v[60:61], s[16:17], v[226:227], v[12:13]
	v_add_f64 v[8:9], v[6:7], v[8:9]
	v_fma_f64 v[6:7], v[226:227], s[16:17], -v[12:13]
	v_fma_f64 v[12:13], v[200:201], s[24:25], -v[112:113]
	v_add_f64 v[30:31], v[30:31], v[58:59]
	v_mul_f64 v[24:25], v[192:193], s[16:17]
	v_mul_f64 v[62:63], v[142:143], s[0:1]
	v_add_f64 v[2:3], v[60:61], v[2:3]
	v_mul_f64 v[60:61], v[142:143], s[24:25]
	v_add_f64 v[12:13], v[12:13], v[30:31]
	v_mul_f64 v[30:31], v[142:143], s[14:15]
	v_mul_f64 v[142:143], v[192:193], s[24:25]
	;; [unrolled: 1-line block ×4, first 2 shown]
	v_fma_f64 v[192:193], s[42:43], v[178:179], v[142:143]
	v_fmac_f64_e32 v[142:143], s[26:27], v[178:179]
	v_add_f64 v[24:25], v[242:243], v[24:25]
	v_mul_f64 v[26:27], v[224:225], s[14:15]
	v_mul_f64 v[66:67], v[224:225], s[0:1]
	v_fma_f64 v[114:115], s[20:21], v[188:189], v[112:113]
	v_add_f64 v[192:193], v[98:99], v[192:193]
	v_fmac_f64_e32 v[112:113], s[36:37], v[188:189]
	v_add_f64 v[142:143], v[98:99], v[142:143]
	v_add_f64 v[14:15], v[244:245], v[14:15]
	;; [unrolled: 1-line block ×3, first 2 shown]
	v_accvgpr_write_b32 a0, v144
	v_accvgpr_write_b32 a15, v145
	v_mul_f64 v[144:145], v[172:173], s[16:17]
	v_mul_f64 v[20:21], v[238:239], s[0:1]
	;; [unrolled: 1-line block ×3, first 2 shown]
	v_fma_f64 v[68:69], s[40:41], v[204:205], v[66:67]
	v_add_f64 v[114:115], v[114:115], v[192:193]
	v_fmac_f64_e32 v[66:67], s[12:13], v[204:205]
	v_add_f64 v[112:113], v[112:113], v[142:143]
	v_add_f64 v[26:27], v[252:253], v[26:27]
	;; [unrolled: 1-line block ×3, first 2 shown]
	v_accvgpr_write_b32 a36, v146
	v_accvgpr_write_b32 a37, v147
	v_mul_f64 v[146:147], v[180:181], s[28:29]
	v_add_f64 v[10:11], v[10:11], v[12:13]
	v_fma_f64 v[12:13], s[30:31], v[220:221], v[58:59]
	v_add_f64 v[68:69], v[68:69], v[114:115]
	v_fmac_f64_e32 v[58:59], s[34:35], v[220:221]
	v_add_f64 v[66:67], v[66:67], v[112:113]
	v_add_f64 v[20:21], v[254:255], v[20:21]
	;; [unrolled: 1-line block ×3, first 2 shown]
	v_add_f64 v[24:25], v[144:145], -v[232:233]
	v_mul_f64 v[56:57], v[200:201], s[14:15]
	v_mul_f64 v[18:19], v[210:211], s[0:1]
	v_add_f64 v[6:7], v[6:7], v[10:11]
	v_fma_f64 v[10:11], s[18:19], v[236:237], v[30:31]
	v_add_f64 v[12:13], v[12:13], v[68:69]
	v_mul_f64 v[68:69], v[248:249], s[38:39]
	v_mul_f64 v[194:195], v[194:195], s[36:37]
	v_fmac_f64_e32 v[30:31], s[38:39], v[236:237]
	v_add_f64 v[58:59], v[58:59], v[66:67]
	v_add_f64 v[0:1], v[0:1], v[60:61]
	;; [unrolled: 1-line block ×3, first 2 shown]
	v_add_f64 v[20:21], v[146:147], -v[234:235]
	v_add_f64 v[24:25], v[96:97], v[24:25]
	v_mul_f64 v[22:23], v[224:225], s[28:29]
	v_add_f64 v[12:13], v[10:11], v[12:13]
	v_fma_f64 v[10:11], s[14:15], v[226:227], v[68:69]
	v_fma_f64 v[224:225], s[16:17], v[180:181], v[194:195]
	v_add_f64 v[188:189], v[30:31], v[58:59]
	v_fma_f64 v[30:31], v[226:227], s[14:15], -v[68:69]
	v_fma_f64 v[68:69], v[180:181], s[16:17], -v[194:195]
	v_add_f64 v[180:181], v[0:1], v[14:15]
	v_add_f64 v[14:15], v[18:19], -v[246:247]
	v_add_f64 v[18:19], v[56:57], -v[240:241]
	v_add_f64 v[20:21], v[20:21], v[24:25]
	v_add_f64 v[18:19], v[18:19], v[20:21]
	;; [unrolled: 1-line block ×4, first 2 shown]
	v_accvgpr_read_b32 v22, a106
	v_accvgpr_read_b32 v20, a112
	;; [unrolled: 1-line block ×4, first 2 shown]
	v_add_f64 v[22:23], v[170:171], v[22:23]
	v_mul_f64 v[64:65], v[226:227], s[24:25]
	v_add_f64 v[20:21], v[208:209], v[20:21]
	v_add_f64 v[22:23], v[98:99], v[22:23]
	v_mul_f64 v[28:29], v[238:239], s[16:17]
	v_add_f64 v[0:1], v[64:65], -v[250:251]
	v_add_f64 v[20:21], v[20:21], v[22:23]
	v_add_f64 v[178:179], v[0:1], v[14:15]
	;; [unrolled: 1-line block ×4, first 2 shown]
	v_accvgpr_read_b32 v20, a96
	v_mul_f64 v[16:17], v[226:227], s[0:1]
	v_mul_f64 v[186:187], v[186:187], s[26:27]
	v_add_f64 v[0:1], v[228:229], v[62:63]
	v_add_f64 v[14:15], v[14:15], v[18:19]
	v_accvgpr_read_b32 v18, a102
	v_accvgpr_read_b32 v21, a97
	v_mul_f64 v[114:115], v[230:231], s[34:35]
	v_fma_f64 v[230:231], s[24:25], v[172:173], v[186:187]
	v_fma_f64 v[112:113], v[172:173], s[24:25], -v[186:187]
	v_add_f64 v[172:173], v[0:1], v[14:15]
	v_add_f64 v[0:1], v[16:17], -v[218:219]
	v_accvgpr_read_b32 v16, a108
	v_accvgpr_read_b32 v19, a103
	v_add_f64 v[20:21], v[20:21], -v[138:139]
	v_accvgpr_read_b32 v17, a109
	v_add_f64 v[18:19], v[18:19], -v[174:175]
	v_add_f64 v[20:21], v[96:97], v[20:21]
	v_mul_f64 v[70:71], v[210:211], s[16:17]
	v_add_f64 v[16:17], v[16:17], -v[206:207]
	v_add_f64 v[18:19], v[18:19], v[20:21]
	v_accvgpr_read_b32 v20, a88
	v_add_f64 v[14:15], v[70:71], -v[212:213]
	v_add_f64 v[16:17], v[16:17], v[18:19]
	v_accvgpr_read_b32 v18, a92
	v_accvgpr_read_b32 v21, a89
	v_add_f64 v[14:15], v[14:15], v[16:17]
	v_accvgpr_read_b32 v16, a98
	v_accvgpr_read_b32 v19, a93
	v_add_f64 v[20:21], v[136:137], v[20:21]
	v_add_f64 v[170:171], v[0:1], v[14:15]
	v_accvgpr_read_b32 v14, a104
	v_accvgpr_read_b32 v17, a99
	v_add_f64 v[18:19], v[168:169], v[18:19]
	;; [unrolled: 4-line block ×5, first 2 shown]
	v_add_f64 v[14:15], v[14:15], v[16:17]
	v_accvgpr_read_b32 v16, a90
	v_accvgpr_read_b32 v19, a87
	v_add_f64 v[20:21], v[20:21], -v[132:133]
	v_add_f64 v[136:137], v[0:1], v[14:15]
	v_accvgpr_read_b32 v14, a94
	v_accvgpr_read_b32 v17, a91
	v_add_f64 v[18:19], v[18:19], -v[134:135]
	;; [unrolled: 4-line block ×3, first 2 shown]
	v_add_f64 v[18:19], v[18:19], v[20:21]
	v_accvgpr_read_b32 v1, a101
	v_add_f64 v[14:15], v[14:15], -v[184:185]
	v_add_f64 v[16:17], v[16:17], v[18:19]
	v_add_f64 v[0:1], v[0:1], -v[196:197]
	v_add_f64 v[14:15], v[14:15], v[16:17]
	v_add_f64 v[134:135], v[0:1], v[14:15]
	;; [unrolled: 1-line block ×19, first 2 shown]
	v_mul_f64 v[198:199], v[214:215], s[12:13]
	v_add_f64 v[112:113], v[96:97], v[112:113]
	v_add_f64 v[0:1], v[0:1], v[126:127]
	v_fma_f64 v[66:67], v[200:201], s[0:1], -v[198:199]
	v_add_f64 v[68:69], v[68:69], v[112:113]
	v_add_f64 v[0:1], v[0:1], v[128:129]
	;; [unrolled: 1-line block ×3, first 2 shown]
	v_fma_f64 v[58:59], v[210:211], s[28:29], -v[114:115]
	v_add_f64 v[66:67], v[66:67], v[68:69]
	v_add_f64 v[96:97], v[0:1], v[130:131]
	v_accvgpr_read_b32 v0, a68
	v_fma_f64 v[214:215], s[0:1], v[200:201], v[198:199]
	v_add_f64 v[224:225], v[224:225], v[230:231]
	v_add_f64 v[58:59], v[58:59], v[66:67]
	v_mul_u32_u24_e32 v0, 0x2c0, v0
	v_accvgpr_read_b32 v1, a1
	v_fma_f64 v[192:193], s[28:29], v[210:211], v[114:115]
	v_add_f64 v[214:215], v[214:215], v[224:225]
	v_accvgpr_read_b32 v115, a83
	v_add_f64 v[186:187], v[30:31], v[58:59]
	v_accvgpr_read_b32 v64, a70
	v_accvgpr_read_b32 v59, a57
	;; [unrolled: 1-line block ×4, first 2 shown]
	v_or_b32_e32 v0, v0, v1
	v_add_f64 v[192:193], v[192:193], v[214:215]
	v_accvgpr_read_b32 v114, a82
	v_accvgpr_read_b32 v113, a81
	;; [unrolled: 1-line block ×19, first 2 shown]
	v_lshlrev_b32_e32 v0, 4, v0
	v_add_f64 v[10:11], v[10:11], v[192:193]
	ds_write_b128 v0, v[96:99]
	ds_write_b128 v0, v[134:137] offset:1024
	ds_write_b128 v0, v[170:173] offset:2048
	;; [unrolled: 1-line block ×10, first 2 shown]
.LBB0_5:
	s_or_b64 exec, exec, s[22:23]
	v_lshl_add_u64 v[0:1], s[10:11], 0, v[140:141]
	s_movk_i32 s0, 0x2000
	v_add_co_u32_e64 v2, s[0:1], s0, v0
	s_waitcnt lgkmcnt(0)
	s_nop 0
	v_addc_co_u32_e64 v3, s[0:1], 0, v1, s[0:1]
	s_movk_i32 s0, 0x3000
	s_nop 0
	v_add_co_u32_e64 v4, s[0:1], s0, v0
	s_barrier
	s_nop 0
	v_addc_co_u32_e64 v5, s[0:1], 0, v1, s[0:1]
	s_movk_i32 s0, 0x4000
	global_load_dwordx4 v[100:103], v[2:3], off offset:3040
	global_load_dwordx4 v[96:99], v[4:5], off offset:1760
	v_add_co_u32_e64 v0, s[0:1], s0, v0
	v_lshl_add_u64 v[124:125], s[8:9], 0, v[140:141]
	s_nop 0
	v_addc_co_u32_e64 v1, s[0:1], 0, v1, s[0:1]
	global_load_dwordx4 v[104:107], v[0:1], off offset:480
	global_load_dwordx4 v[108:111], v[0:1], off offset:3296
	ds_read_b128 v[0:3], v140
	ds_read_b128 v[4:7], v140 offset:2816
	ds_read_b128 v[8:11], v140 offset:11264
	;; [unrolled: 1-line block ×7, first 2 shown]
	s_mov_b64 s[0:1], 0x5800
	s_movk_i32 s8, 0x5000
	v_lshl_add_u64 v[12:13], v[124:125], 0, s[0:1]
	v_add_co_u32_e64 v14, s[0:1], s8, v124
	s_mov_b32 s9, 0x8000
	s_nop 0
	v_addc_co_u32_e64 v15, s[0:1], 0, v125, s[0:1]
	s_waitcnt vmcnt(3) lgkmcnt(5)
	v_mul_f64 v[16:17], v[10:11], v[102:103]
	s_waitcnt vmcnt(2) lgkmcnt(4)
	v_mul_f64 v[20:21], v[128:129], v[98:99]
	v_mul_f64 v[18:19], v[8:9], v[102:103]
	;; [unrolled: 1-line block ×3, first 2 shown]
	v_fma_f64 v[8:9], v[8:9], v[100:101], -v[16:17]
	v_fma_f64 v[16:17], v[126:127], v[96:97], -v[20:21]
	s_waitcnt vmcnt(1) lgkmcnt(1)
	v_mul_f64 v[24:25], v[150:151], v[106:107]
	v_mul_f64 v[26:27], v[148:149], v[106:107]
	s_waitcnt vmcnt(0) lgkmcnt(0)
	v_mul_f64 v[28:29], v[154:155], v[110:111]
	v_mul_f64 v[30:31], v[152:153], v[110:111]
	v_fmac_f64_e32 v[18:19], v[10:11], v[100:101]
	v_fmac_f64_e32 v[22:23], v[128:129], v[96:97]
	v_add_f64 v[126:127], v[4:5], -v[16:17]
	v_add_co_u32_e64 v16, s[0:1], s9, v124
	v_fma_f64 v[20:21], v[148:149], v[104:105], -v[24:25]
	v_fmac_f64_e32 v[26:27], v[150:151], v[104:105]
	v_fma_f64 v[24:25], v[152:153], v[108:109], -v[28:29]
	v_fmac_f64_e32 v[30:31], v[154:155], v[108:109]
	v_add_f64 v[8:9], v[0:1], -v[8:9]
	v_add_f64 v[10:11], v[2:3], -v[18:19]
	;; [unrolled: 1-line block ×3, first 2 shown]
	v_addc_co_u32_e64 v17, s[0:1], 0, v125, s[0:1]
	v_add_f64 v[148:149], v[130:131], -v[20:21]
	v_add_f64 v[150:151], v[132:133], -v[26:27]
	;; [unrolled: 1-line block ×4, first 2 shown]
	v_fma_f64 v[0:1], v[0:1], 2.0, -v[8:9]
	v_fma_f64 v[2:3], v[2:3], 2.0, -v[10:11]
	;; [unrolled: 1-line block ×4, first 2 shown]
	s_movk_i32 s0, 0x6000
	v_fma_f64 v[130:131], v[130:131], 2.0, -v[148:149]
	v_fma_f64 v[132:133], v[132:133], 2.0, -v[150:151]
	;; [unrolled: 1-line block ×4, first 2 shown]
	ds_write_b128 v140, v[8:11] offset:11264
	ds_write_b128 v140, v[126:129] offset:14080
	;; [unrolled: 1-line block ×4, first 2 shown]
	ds_write_b128 v140, v[0:3]
	ds_write_b128 v140, v[4:7] offset:2816
	ds_write_b128 v140, v[130:133] offset:5632
	;; [unrolled: 1-line block ×3, first 2 shown]
	s_waitcnt lgkmcnt(0)
	s_barrier
	global_load_dwordx4 v[0:3], v[14:15], off offset:2048
	global_load_dwordx4 v[4:7], v[12:13], off offset:2816
	;; [unrolled: 1-line block ×4, first 2 shown]
	v_add_co_u32_e64 v12, s[0:1], s0, v124
	s_nop 1
	v_addc_co_u32_e64 v13, s[0:1], 0, v125, s[0:1]
	s_mov_b32 s0, 0x9000
	s_nop 0
	v_add_co_u32_e64 v14, s[0:1], s0, v124
	s_nop 1
	v_addc_co_u32_e64 v15, s[0:1], 0, v125, s[0:1]
	s_movk_i32 s0, 0x7000
	global_load_dwordx4 v[130:133], v[12:13], off offset:3584
	global_load_dwordx4 v[134:137], v[14:15], off offset:2560
	v_add_co_u32_e64 v12, s[0:1], s0, v124
	s_nop 1
	v_addc_co_u32_e64 v13, s[0:1], 0, v125, s[0:1]
	s_mov_b32 s0, 0xa000
	global_load_dwordx4 v[148:151], v[12:13], off offset:2304
	v_add_co_u32_e64 v12, s[0:1], s0, v124
	s_nop 1
	v_addc_co_u32_e64 v13, s[0:1], 0, v125, s[0:1]
	global_load_dwordx4 v[152:155], v[12:13], off offset:1280
	ds_read_b128 v[156:159], v140
	ds_read_b128 v[160:163], v140 offset:2816
	ds_read_b128 v[164:167], v140 offset:11264
	;; [unrolled: 1-line block ×7, first 2 shown]
	s_waitcnt vmcnt(7) lgkmcnt(7)
	v_mul_f64 v[14:15], v[158:159], v[2:3]
	v_mul_f64 v[12:13], v[156:157], v[2:3]
	s_waitcnt vmcnt(5) lgkmcnt(5)
	v_mul_f64 v[16:17], v[166:167], v[10:11]
	v_mul_f64 v[2:3], v[164:165], v[10:11]
	;; [unrolled: 1-line block ×4, first 2 shown]
	s_waitcnt vmcnt(4) lgkmcnt(4)
	v_mul_f64 v[20:21], v[170:171], v[128:129]
	v_mul_f64 v[6:7], v[168:169], v[128:129]
	v_fma_f64 v[10:11], v[156:157], v[0:1], -v[14:15]
	v_fmac_f64_e32 v[12:13], v[158:159], v[0:1]
	v_fma_f64 v[0:1], v[164:165], v[8:9], -v[16:17]
	v_fmac_f64_e32 v[2:3], v[166:167], v[8:9]
	v_fmac_f64_e32 v[138:139], v[162:163], v[4:5]
	;; [unrolled: 1-line block ×3, first 2 shown]
	s_waitcnt vmcnt(3) lgkmcnt(3)
	v_mul_f64 v[22:23], v[174:175], v[132:133]
	v_mul_f64 v[128:129], v[172:173], v[132:133]
	s_waitcnt vmcnt(2) lgkmcnt(1)
	v_mul_f64 v[24:25], v[182:183], v[136:137]
	v_mul_f64 v[132:133], v[180:181], v[136:137]
	v_fma_f64 v[136:137], v[160:161], v[4:5], -v[18:19]
	v_fma_f64 v[4:5], v[168:169], v[126:127], -v[20:21]
	v_fma_f64 v[126:127], v[172:173], v[130:131], -v[22:23]
	v_fmac_f64_e32 v[128:129], v[174:175], v[130:131]
	s_waitcnt vmcnt(1)
	v_mul_f64 v[26:27], v[178:179], v[150:151]
	v_mul_f64 v[190:191], v[176:177], v[150:151]
	v_fma_f64 v[130:131], v[180:181], v[134:135], -v[24:25]
	v_fmac_f64_e32 v[132:133], v[182:183], v[134:135]
	v_fma_f64 v[188:189], v[176:177], v[148:149], -v[26:27]
	v_fmac_f64_e32 v[190:191], v[178:179], v[148:149]
	s_waitcnt vmcnt(0) lgkmcnt(0)
	v_mul_f64 v[28:29], v[186:187], v[154:155]
	v_mul_f64 v[150:151], v[184:185], v[154:155]
	v_fma_f64 v[148:149], v[184:185], v[152:153], -v[28:29]
	v_fmac_f64_e32 v[150:151], v[186:187], v[152:153]
	ds_write_b128 v140, v[10:13]
	ds_write_b128 v140, v[0:3] offset:11264
	ds_write_b128 v140, v[136:139] offset:2816
	;; [unrolled: 1-line block ×7, first 2 shown]
	s_waitcnt lgkmcnt(0)
	s_barrier
	ds_read_b128 v[0:3], v140
	ds_read_b128 v[4:7], v140 offset:2816
	ds_read_b128 v[8:11], v140 offset:11264
	;; [unrolled: 1-line block ×7, first 2 shown]
	s_waitcnt lgkmcnt(5)
	v_add_f64 v[8:9], v[0:1], -v[8:9]
	v_add_f64 v[10:11], v[2:3], -v[10:11]
	v_fma_f64 v[0:1], v[0:1], 2.0, -v[8:9]
	v_fma_f64 v[2:3], v[2:3], 2.0, -v[10:11]
	s_waitcnt lgkmcnt(4)
	v_add_f64 v[124:125], v[4:5], -v[124:125]
	v_add_f64 v[126:127], v[6:7], -v[126:127]
	s_waitcnt lgkmcnt(1)
	v_add_f64 v[136:137], v[128:129], -v[136:137]
	v_add_f64 v[138:139], v[130:131], -v[138:139]
	;; [unrolled: 3-line block ×3, first 2 shown]
	v_fma_f64 v[4:5], v[4:5], 2.0, -v[124:125]
	v_fma_f64 v[6:7], v[6:7], 2.0, -v[126:127]
	;; [unrolled: 1-line block ×6, first 2 shown]
	s_barrier
	ds_write_b128 v145, v[0:3]
	ds_write_b128 v145, v[8:11] offset:16
	ds_write_b128 v146, v[4:7]
	ds_write_b128 v146, v[124:127] offset:16
	ds_write_b128 v147, v[128:131]
	ds_write_b128 v147, v[136:139] offset:16
	v_accvgpr_read_b32 v0, a38
	ds_write_b128 v0, v[132:135]
	ds_write_b128 v0, v[148:151] offset:16
	s_waitcnt lgkmcnt(0)
	s_barrier
	ds_read_b128 v[0:3], v140
	ds_read_b128 v[4:7], v140 offset:2816
	ds_read_b128 v[8:11], v140 offset:11264
	;; [unrolled: 1-line block ×7, first 2 shown]
	s_waitcnt lgkmcnt(5)
	v_mul_f64 v[12:13], v[34:35], v[10:11]
	v_fmac_f64_e32 v[12:13], v[32:33], v[8:9]
	v_mul_f64 v[8:9], v[34:35], v[8:9]
	v_fma_f64 v[10:11], v[32:33], v[10:11], -v[8:9]
	s_waitcnt lgkmcnt(4)
	v_mul_f64 v[8:9], v[34:35], v[124:125]
	v_fma_f64 v[16:17], v[32:33], v[126:127], -v[8:9]
	s_waitcnt lgkmcnt(1)
	v_mul_f64 v[8:9], v[34:35], v[136:137]
	v_mul_f64 v[14:15], v[34:35], v[126:127]
	v_fma_f64 v[20:21], v[32:33], v[138:139], -v[8:9]
	s_waitcnt lgkmcnt(0)
	v_mul_f64 v[8:9], v[34:35], v[148:149]
	v_fmac_f64_e32 v[14:15], v[32:33], v[124:125]
	v_mul_f64 v[18:19], v[34:35], v[138:139]
	v_mul_f64 v[22:23], v[34:35], v[150:151]
	v_fma_f64 v[24:25], v[32:33], v[150:151], -v[8:9]
	v_add_f64 v[8:9], v[0:1], -v[12:13]
	v_add_f64 v[10:11], v[2:3], -v[10:11]
	v_fmac_f64_e32 v[18:19], v[32:33], v[136:137]
	v_fmac_f64_e32 v[22:23], v[32:33], v[148:149]
	v_fma_f64 v[0:1], v[0:1], 2.0, -v[8:9]
	v_fma_f64 v[2:3], v[2:3], 2.0, -v[10:11]
	v_add_f64 v[32:33], v[4:5], -v[14:15]
	v_add_f64 v[34:35], v[6:7], -v[16:17]
	v_accvgpr_read_b32 v12, a39
	v_fma_f64 v[4:5], v[4:5], 2.0, -v[32:33]
	v_fma_f64 v[6:7], v[6:7], 2.0, -v[34:35]
	v_add_f64 v[124:125], v[128:129], -v[18:19]
	v_add_f64 v[126:127], v[130:131], -v[20:21]
	s_barrier
	ds_write_b128 v12, v[0:3]
	ds_write_b128 v12, v[8:11] offset:32
	v_accvgpr_read_b32 v0, a40
	v_fma_f64 v[128:129], v[128:129], 2.0, -v[124:125]
	v_fma_f64 v[130:131], v[130:131], 2.0, -v[126:127]
	v_add_f64 v[136:137], v[132:133], -v[22:23]
	v_add_f64 v[138:139], v[134:135], -v[24:25]
	ds_write_b128 v0, v[4:7]
	ds_write_b128 v0, v[32:35] offset:32
	v_accvgpr_read_b32 v0, a41
	v_fma_f64 v[132:133], v[132:133], 2.0, -v[136:137]
	v_fma_f64 v[134:135], v[134:135], 2.0, -v[138:139]
	ds_write_b128 v0, v[128:131]
	ds_write_b128 v0, v[124:127] offset:32
	v_accvgpr_read_b32 v0, a42
	ds_write_b128 v0, v[132:135]
	ds_write_b128 v0, v[136:139] offset:32
	s_waitcnt lgkmcnt(0)
	s_barrier
	ds_read_b128 v[0:3], v140
	ds_read_b128 v[4:7], v140 offset:2816
	ds_read_b128 v[8:11], v140 offset:11264
	ds_read_b128 v[32:35], v140 offset:14080
	ds_read_b128 v[124:127], v140 offset:5632
	ds_read_b128 v[128:131], v140 offset:8448
	ds_read_b128 v[132:135], v140 offset:16896
	ds_read_b128 v[136:139], v140 offset:19712
	s_waitcnt lgkmcnt(5)
	v_mul_f64 v[12:13], v[38:39], v[10:11]
	v_fmac_f64_e32 v[12:13], v[36:37], v[8:9]
	v_mul_f64 v[8:9], v[38:39], v[8:9]
	v_fma_f64 v[10:11], v[36:37], v[10:11], -v[8:9]
	s_waitcnt lgkmcnt(4)
	v_mul_f64 v[8:9], v[38:39], v[32:33]
	v_fma_f64 v[16:17], v[36:37], v[34:35], -v[8:9]
	s_waitcnt lgkmcnt(1)
	v_mul_f64 v[8:9], v[38:39], v[132:133]
	v_mul_f64 v[14:15], v[38:39], v[34:35]
	v_fma_f64 v[20:21], v[36:37], v[134:135], -v[8:9]
	s_waitcnt lgkmcnt(0)
	v_mul_f64 v[8:9], v[38:39], v[136:137]
	v_fmac_f64_e32 v[14:15], v[36:37], v[32:33]
	v_mul_f64 v[18:19], v[38:39], v[134:135]
	v_fma_f64 v[24:25], v[36:37], v[138:139], -v[8:9]
	v_add_f64 v[8:9], v[0:1], -v[12:13]
	v_add_f64 v[10:11], v[2:3], -v[10:11]
	v_fmac_f64_e32 v[18:19], v[36:37], v[132:133]
	v_mul_f64 v[22:23], v[38:39], v[138:139]
	v_fma_f64 v[0:1], v[0:1], 2.0, -v[8:9]
	v_fma_f64 v[2:3], v[2:3], 2.0, -v[10:11]
	v_add_f64 v[32:33], v[4:5], -v[14:15]
	v_add_f64 v[34:35], v[6:7], -v[16:17]
	v_accvgpr_read_b32 v12, a43
	v_fmac_f64_e32 v[22:23], v[36:37], v[136:137]
	v_fma_f64 v[4:5], v[4:5], 2.0, -v[32:33]
	v_fma_f64 v[6:7], v[6:7], 2.0, -v[34:35]
	v_add_f64 v[36:37], v[124:125], -v[18:19]
	v_add_f64 v[38:39], v[126:127], -v[20:21]
	s_barrier
	ds_write_b128 v12, v[0:3]
	ds_write_b128 v12, v[8:11] offset:64
	v_accvgpr_read_b32 v0, a44
	v_fma_f64 v[124:125], v[124:125], 2.0, -v[36:37]
	v_fma_f64 v[126:127], v[126:127], 2.0, -v[38:39]
	v_add_f64 v[132:133], v[128:129], -v[22:23]
	v_add_f64 v[134:135], v[130:131], -v[24:25]
	ds_write_b128 v0, v[4:7]
	ds_write_b128 v0, v[32:35] offset:64
	v_accvgpr_read_b32 v0, a45
	v_fma_f64 v[128:129], v[128:129], 2.0, -v[132:133]
	v_fma_f64 v[130:131], v[130:131], 2.0, -v[134:135]
	ds_write_b128 v0, v[124:127]
	ds_write_b128 v0, v[36:39] offset:64
	v_accvgpr_read_b32 v0, a46
	ds_write_b128 v0, v[128:131]
	ds_write_b128 v0, v[132:135] offset:64
	s_waitcnt lgkmcnt(0)
	s_barrier
	ds_read_b128 v[0:3], v140
	ds_read_b128 v[4:7], v140 offset:2816
	ds_read_b128 v[8:11], v140 offset:11264
	ds_read_b128 v[32:35], v140 offset:14080
	ds_read_b128 v[36:39], v140 offset:5632
	ds_read_b128 v[124:127], v140 offset:8448
	ds_read_b128 v[128:131], v140 offset:16896
	ds_read_b128 v[132:135], v140 offset:19712
	s_waitcnt lgkmcnt(5)
	v_mul_f64 v[12:13], v[42:43], v[10:11]
	v_fmac_f64_e32 v[12:13], v[40:41], v[8:9]
	v_mul_f64 v[8:9], v[42:43], v[8:9]
	v_fma_f64 v[10:11], v[40:41], v[10:11], -v[8:9]
	s_waitcnt lgkmcnt(4)
	v_mul_f64 v[8:9], v[42:43], v[32:33]
	v_fma_f64 v[16:17], v[40:41], v[34:35], -v[8:9]
	s_waitcnt lgkmcnt(1)
	v_mul_f64 v[8:9], v[42:43], v[128:129]
	v_mul_f64 v[14:15], v[42:43], v[34:35]
	v_fma_f64 v[20:21], v[40:41], v[130:131], -v[8:9]
	s_waitcnt lgkmcnt(0)
	v_mul_f64 v[8:9], v[42:43], v[132:133]
	v_fmac_f64_e32 v[14:15], v[40:41], v[32:33]
	v_mul_f64 v[18:19], v[42:43], v[130:131]
	v_fma_f64 v[24:25], v[40:41], v[134:135], -v[8:9]
	v_add_f64 v[8:9], v[0:1], -v[12:13]
	v_add_f64 v[10:11], v[2:3], -v[10:11]
	v_fmac_f64_e32 v[18:19], v[40:41], v[128:129]
	v_mul_f64 v[22:23], v[42:43], v[134:135]
	v_fma_f64 v[0:1], v[0:1], 2.0, -v[8:9]
	v_fma_f64 v[2:3], v[2:3], 2.0, -v[10:11]
	v_add_f64 v[32:33], v[4:5], -v[14:15]
	v_add_f64 v[34:35], v[6:7], -v[16:17]
	v_accvgpr_read_b32 v12, a48
	v_fmac_f64_e32 v[22:23], v[40:41], v[132:133]
	;; [unrolled: 59-line block ×3, first 2 shown]
	v_fma_f64 v[4:5], v[4:5], 2.0, -v[32:33]
	v_fma_f64 v[6:7], v[6:7], 2.0, -v[34:35]
	v_add_f64 v[44:45], v[36:37], -v[18:19]
	v_add_f64 v[46:47], v[38:39], -v[20:21]
	s_barrier
	ds_write_b128 v12, v[0:3]
	ds_write_b128 v12, v[8:11] offset:256
	v_accvgpr_read_b32 v0, a61
	v_fma_f64 v[36:37], v[36:37], 2.0, -v[44:45]
	v_fma_f64 v[38:39], v[38:39], 2.0, -v[46:47]
	v_add_f64 v[124:125], v[40:41], -v[22:23]
	v_add_f64 v[126:127], v[42:43], -v[24:25]
	ds_write_b128 v0, v[4:7]
	ds_write_b128 v0, v[32:35] offset:256
	v_accvgpr_read_b32 v0, a60
	v_fma_f64 v[40:41], v[40:41], 2.0, -v[124:125]
	v_fma_f64 v[42:43], v[42:43], 2.0, -v[126:127]
	ds_write_b128 v0, v[36:39]
	ds_write_b128 v0, v[44:47] offset:256
	v_accvgpr_read_b32 v0, a51
	ds_write_b128 v0, v[40:43]
	ds_write_b128 v0, v[124:127] offset:256
	s_waitcnt lgkmcnt(0)
	s_barrier
	ds_read_b128 v[0:3], v140
	ds_read_b128 v[4:7], v140 offset:2816
	ds_read_b128 v[8:11], v140 offset:11264
	;; [unrolled: 1-line block ×7, first 2 shown]
	s_waitcnt lgkmcnt(5)
	v_mul_f64 v[12:13], v[50:51], v[10:11]
	v_fmac_f64_e32 v[12:13], v[48:49], v[8:9]
	v_mul_f64 v[8:9], v[50:51], v[8:9]
	v_accvgpr_read_b32 v16, a58
	v_fma_f64 v[8:9], v[48:49], v[10:11], -v[8:9]
	s_waitcnt lgkmcnt(4)
	v_mul_f64 v[10:11], v[54:55], v[34:35]
	v_accvgpr_read_b32 v17, a59
	v_mul_f64 v[14:15], v[54:55], v[32:33]
	v_fmac_f64_e32 v[10:11], v[16:17], v[32:33]
	v_fma_f64 v[14:15], v[16:17], v[34:35], -v[14:15]
	s_waitcnt lgkmcnt(1)
	v_mul_f64 v[16:17], v[50:51], v[38:39]
	v_mul_f64 v[18:19], v[50:51], v[36:37]
	v_accvgpr_read_b32 v22, a52
	v_fmac_f64_e32 v[16:17], v[48:49], v[36:37]
	v_fma_f64 v[18:19], v[48:49], v[38:39], -v[18:19]
	v_accvgpr_read_b32 v23, a53
	v_add_f64 v[36:37], v[0:1], -v[12:13]
	v_add_f64 v[38:39], v[2:3], -v[8:9]
	s_waitcnt lgkmcnt(0)
	v_mul_f64 v[20:21], v[22:23], v[42:43]
	v_mul_f64 v[22:23], v[22:23], v[40:41]
	v_fma_f64 v[32:33], v[0:1], 2.0, -v[36:37]
	v_fma_f64 v[34:35], v[2:3], 2.0, -v[38:39]
	v_add_f64 v[44:45], v[4:5], -v[10:11]
	v_add_f64 v[46:47], v[6:7], -v[14:15]
	v_accvgpr_read_b32 v0, a75
	v_fmac_f64_e32 v[20:21], v[52:53], v[40:41]
	v_fma_f64 v[22:23], v[52:53], v[42:43], -v[22:23]
	v_fma_f64 v[40:41], v[4:5], 2.0, -v[44:45]
	v_fma_f64 v[42:43], v[6:7], 2.0, -v[46:47]
	v_add_f64 v[52:53], v[124:125], -v[16:17]
	v_add_f64 v[54:55], v[126:127], -v[18:19]
	s_barrier
	ds_write_b128 v0, v[32:35]
	ds_write_b128 v0, v[36:39] offset:512
	v_accvgpr_read_b32 v0, a74
	v_fma_f64 v[48:49], v[124:125], 2.0, -v[52:53]
	v_fma_f64 v[50:51], v[126:127], 2.0, -v[54:55]
	v_add_f64 v[124:125], v[128:129], -v[20:21]
	v_add_f64 v[126:127], v[130:131], -v[22:23]
	ds_write_b128 v0, v[40:43]
	ds_write_b128 v0, v[44:47] offset:512
	v_accvgpr_read_b32 v0, a69
	v_fma_f64 v[128:129], v[128:129], 2.0, -v[124:125]
	v_fma_f64 v[130:131], v[130:131], 2.0, -v[126:127]
	ds_write_b128 v0, v[48:51]
	ds_write_b128 v0, v[52:55] offset:512
	v_accvgpr_read_b32 v0, a67
	ds_write_b128 v0, v[128:131]
	ds_write_b128 v0, v[124:127] offset:512
	s_waitcnt lgkmcnt(0)
	s_barrier
	s_and_saveexec_b64 s[0:1], vcc
	s_cbranch_execz .LBB0_7
; %bb.6:
	ds_read_b128 v[32:35], v140
	ds_read_b128 v[36:39], v140 offset:2048
	ds_read_b128 v[40:43], v140 offset:4096
	;; [unrolled: 1-line block ×10, first 2 shown]
.LBB0_7:
	s_or_b64 exec, exec, s[0:1]
	s_waitcnt lgkmcnt(0)
	s_barrier
	s_and_saveexec_b64 s[0:1], vcc
	s_cbranch_execz .LBB0_9
; %bb.8:
	v_mul_f64 v[132:133], v[94:95], v[54:55]
	v_fmac_f64_e32 v[132:133], v[92:93], v[52:53]
	v_mul_f64 v[2:3], v[94:95], v[52:53]
	v_mul_f64 v[52:53], v[70:71], v[50:51]
	;; [unrolled: 1-line block ×5, first 2 shown]
	v_fma_f64 v[92:93], v[92:93], v[54:55], -v[2:3]
	v_mul_f64 v[2:3], v[90:91], v[128:129]
	v_fmac_f64_e32 v[52:53], v[68:69], v[48:49]
	v_mul_f64 v[54:55], v[86:87], v[126:127]
	v_fma_f64 v[90:91], v[68:69], v[50:51], -v[6:7]
	v_mul_f64 v[6:7], v[86:87], v[124:125]
	v_mul_f64 v[68:69], v[78:79], v[122:123]
	v_fma_f64 v[86:87], v[64:65], v[46:47], -v[10:11]
	v_mul_f64 v[10:11], v[78:79], v[120:121]
	v_fmac_f64_e32 v[54:55], v[84:85], v[124:125]
	v_fma_f64 v[70:71], v[84:85], v[126:127], -v[6:7]
	v_mul_f64 v[84:85], v[66:67], v[46:47]
	v_fmac_f64_e32 v[68:69], v[76:77], v[120:121]
	v_fma_f64 v[66:67], v[76:77], v[122:123], -v[10:11]
	v_mul_f64 v[76:77], v[62:63], v[42:43]
	v_mul_f64 v[14:15], v[62:63], v[40:41]
	v_fmac_f64_e32 v[76:77], v[60:61], v[40:41]
	v_fma_f64 v[120:121], v[60:61], v[42:43], -v[14:15]
	v_mul_f64 v[78:79], v[58:59], v[38:39]
	v_mul_f64 v[60:61], v[74:75], v[114:115]
	v_mul_f64 v[18:19], v[58:59], v[36:37]
	v_fmac_f64_e32 v[84:85], v[64:65], v[44:45]
	v_mul_f64 v[64:65], v[82:83], v[118:119]
	v_mul_f64 v[14:15], v[82:83], v[116:117]
	v_fmac_f64_e32 v[78:79], v[56:57], v[36:37]
	v_fmac_f64_e32 v[60:61], v[72:73], v[112:113]
	s_mov_b32 s24, 0xfd768dbf
	v_fma_f64 v[58:59], v[56:57], v[38:39], -v[18:19]
	v_mul_f64 v[18:19], v[74:75], v[112:113]
	v_fmac_f64_e32 v[64:65], v[80:81], v[116:117]
	s_mov_b32 s26, 0xf8bb580b
	v_fma_f64 v[62:63], v[80:81], v[118:119], -v[14:15]
	v_add_f64 v[118:119], v[78:79], -v[60:61]
	s_mov_b32 s25, 0xbfd207e7
	v_fma_f64 v[56:57], v[72:73], v[114:115], -v[18:19]
	s_mov_b32 s22, 0x9bcd5057
	v_fmac_f64_e32 v[134:135], v[88:89], v[128:129]
	v_fma_f64 v[88:89], v[88:89], v[130:131], -v[2:3]
	s_mov_b32 s20, 0xbb3a28a1
	v_add_f64 v[130:131], v[76:77], -v[64:65]
	s_mov_b32 s27, 0x3fe14ced
	s_mov_b32 s18, 0x8764f0ba
	v_mul_f64 v[16:17], v[118:119], s[24:25]
	v_add_f64 v[72:73], v[58:59], v[56:57]
	s_mov_b32 s23, 0xbfeeb42a
	v_add_f64 v[126:127], v[84:85], -v[68:69]
	s_mov_b32 s21, 0xbfe82f19
	s_mov_b32 s16, 0x7f775887
	v_mul_f64 v[12:13], v[130:131], s[26:27]
	v_add_f64 v[80:81], v[120:121], v[62:63]
	s_mov_b32 s19, 0x3feaeb8c
	v_fma_f64 v[18:19], s[22:23], v[72:73], v[16:17]
	v_add_f64 v[150:151], v[58:59], -v[56:57]
	s_mov_b32 s10, 0x43842ef
	v_add_f64 v[128:129], v[52:53], -v[54:55]
	s_mov_b32 s15, 0x3fed1bb4
	s_mov_b32 s14, 0x8eee2c13
	;; [unrolled: 1-line block ×3, first 2 shown]
	v_mul_f64 v[8:9], v[126:127], s[20:21]
	v_add_f64 v[122:123], v[86:87], v[66:67]
	s_mov_b32 s17, 0xbfe4f49e
	v_fma_f64 v[14:15], s[18:19], v[80:81], v[12:13]
	v_add_f64 v[18:19], v[34:35], v[18:19]
	v_add_f64 v[148:149], v[120:121], -v[62:63]
	v_add_f64 v[116:117], v[78:79], v[60:61]
	v_mul_f64 v[26:27], v[150:151], s[24:25]
	v_add_f64 v[136:137], v[132:133], -v[134:135]
	s_mov_b32 s11, 0xbfefac9e
	s_mov_b32 s8, 0x640f44db
	v_mul_f64 v[4:5], v[128:129], s[14:15]
	v_add_f64 v[124:125], v[90:91], v[70:71]
	s_mov_b32 s13, 0x3fda9628
	v_fma_f64 v[10:11], s[16:17], v[122:123], v[8:9]
	v_add_f64 v[14:15], v[14:15], v[18:19]
	v_add_f64 v[146:147], v[86:87], -v[66:67]
	v_add_f64 v[114:115], v[76:77], v[64:65]
	v_mul_f64 v[22:23], v[148:149], s[26:27]
	v_fma_f64 v[28:29], v[116:117], s[22:23], -v[26:27]
	v_mul_f64 v[0:1], v[136:137], s[10:11]
	v_add_f64 v[94:95], v[92:93], v[88:89]
	s_mov_b32 s9, 0xbfc2375f
	v_fma_f64 v[6:7], s[12:13], v[124:125], v[4:5]
	v_add_f64 v[10:11], v[10:11], v[14:15]
	v_mov_b32_e32 v141, v144
	v_add_f64 v[144:145], v[90:91], -v[70:71]
	v_add_f64 v[112:113], v[84:85], v[68:69]
	v_mul_f64 v[18:19], v[146:147], s[20:21]
	v_fma_f64 v[24:25], v[114:115], s[18:19], -v[22:23]
	v_add_f64 v[28:29], v[32:33], v[28:29]
	v_fma_f64 v[2:3], s[8:9], v[94:95], v[0:1]
	v_add_f64 v[6:7], v[6:7], v[10:11]
	v_add_f64 v[138:139], v[92:93], -v[88:89]
	v_add_f64 v[82:83], v[52:53], v[54:55]
	v_mul_f64 v[10:11], v[144:145], s[14:15]
	v_fma_f64 v[20:21], v[112:113], s[16:17], -v[18:19]
	v_add_f64 v[24:25], v[24:25], v[28:29]
	v_add_f64 v[38:39], v[2:3], v[6:7]
	;; [unrolled: 1-line block ×3, first 2 shown]
	v_mul_f64 v[2:3], v[138:139], s[10:11]
	v_fma_f64 v[14:15], v[82:83], s[12:13], -v[10:11]
	v_add_f64 v[20:21], v[20:21], v[24:25]
	v_fma_f64 v[6:7], v[74:75], s[8:9], -v[2:3]
	v_add_f64 v[14:15], v[14:15], v[20:21]
	v_add_f64 v[36:37], v[6:7], v[14:15]
	v_fma_f64 v[6:7], v[122:123], s[16:17], -v[8:9]
	v_fma_f64 v[8:9], v[80:81], s[18:19], -v[12:13]
	;; [unrolled: 1-line block ×3, first 2 shown]
	v_add_f64 v[12:13], v[34:35], v[12:13]
	v_add_f64 v[8:9], v[8:9], v[12:13]
	v_fma_f64 v[4:5], v[124:125], s[12:13], -v[4:5]
	v_add_f64 v[6:7], v[6:7], v[8:9]
	v_fma_f64 v[0:1], v[94:95], s[8:9], -v[0:1]
	v_add_f64 v[4:5], v[4:5], v[6:7]
	v_fmac_f64_e32 v[26:27], s[22:23], v[116:117]
	v_add_f64 v[42:43], v[0:1], v[4:5]
	v_fmac_f64_e32 v[22:23], s[18:19], v[114:115]
	;; [unrolled: 2-line block ×3, first 2 shown]
	v_add_f64 v[0:1], v[22:23], v[0:1]
	s_mov_b32 s31, 0x3fefac9e
	s_mov_b32 s30, s10
	v_mul_f64 v[16:17], v[118:119], s[20:21]
	v_add_f64 v[0:1], v[18:19], v[0:1]
	s_mov_b32 s29, 0xbfe14ced
	s_mov_b32 s28, s26
	v_mul_f64 v[12:13], v[130:131], s[30:31]
	v_fma_f64 v[18:19], s[16:17], v[72:73], v[16:17]
	v_fmac_f64_e32 v[10:11], s[12:13], v[82:83]
	v_mul_f64 v[8:9], v[126:127], s[28:29]
	v_fma_f64 v[14:15], s[8:9], v[80:81], v[12:13]
	v_add_f64 v[18:19], v[34:35], v[18:19]
	v_mul_f64 v[26:27], v[150:151], s[20:21]
	v_fmac_f64_e32 v[2:3], s[8:9], v[74:75]
	v_add_f64 v[0:1], v[10:11], v[0:1]
	v_mul_f64 v[4:5], v[128:129], s[24:25]
	v_fma_f64 v[10:11], s[18:19], v[122:123], v[8:9]
	v_add_f64 v[14:15], v[14:15], v[18:19]
	v_mul_f64 v[22:23], v[148:149], s[30:31]
	v_fma_f64 v[28:29], v[116:117], s[16:17], -v[26:27]
	v_add_f64 v[40:41], v[2:3], v[0:1]
	v_mul_f64 v[0:1], v[136:137], s[14:15]
	v_fma_f64 v[6:7], s[22:23], v[124:125], v[4:5]
	v_add_f64 v[10:11], v[10:11], v[14:15]
	v_mul_f64 v[18:19], v[146:147], s[28:29]
	v_fma_f64 v[24:25], v[114:115], s[8:9], -v[22:23]
	v_add_f64 v[28:29], v[32:33], v[28:29]
	v_fma_f64 v[2:3], s[12:13], v[94:95], v[0:1]
	v_add_f64 v[6:7], v[6:7], v[10:11]
	v_mul_f64 v[10:11], v[144:145], s[24:25]
	v_fma_f64 v[20:21], v[112:113], s[18:19], -v[18:19]
	v_add_f64 v[24:25], v[24:25], v[28:29]
	v_add_f64 v[46:47], v[2:3], v[6:7]
	v_mul_f64 v[2:3], v[138:139], s[14:15]
	v_fma_f64 v[14:15], v[82:83], s[22:23], -v[10:11]
	v_add_f64 v[20:21], v[20:21], v[24:25]
	v_fma_f64 v[6:7], v[74:75], s[12:13], -v[2:3]
	v_add_f64 v[14:15], v[14:15], v[20:21]
	v_add_f64 v[44:45], v[6:7], v[14:15]
	v_fma_f64 v[6:7], v[122:123], s[18:19], -v[8:9]
	v_fma_f64 v[8:9], v[80:81], s[8:9], -v[12:13]
	;; [unrolled: 1-line block ×3, first 2 shown]
	v_add_f64 v[12:13], v[34:35], v[12:13]
	v_add_f64 v[8:9], v[8:9], v[12:13]
	v_fma_f64 v[4:5], v[124:125], s[22:23], -v[4:5]
	v_add_f64 v[6:7], v[6:7], v[8:9]
	v_fma_f64 v[0:1], v[94:95], s[12:13], -v[0:1]
	v_add_f64 v[4:5], v[4:5], v[6:7]
	v_fmac_f64_e32 v[26:27], s[16:17], v[116:117]
	v_add_f64 v[50:51], v[0:1], v[4:5]
	v_fmac_f64_e32 v[22:23], s[8:9], v[114:115]
	;; [unrolled: 2-line block ×3, first 2 shown]
	v_add_f64 v[0:1], v[22:23], v[0:1]
	s_mov_b32 s35, 0x3fd207e7
	s_mov_b32 s34, s24
	v_mul_f64 v[16:17], v[118:119], s[10:11]
	v_add_f64 v[0:1], v[18:19], v[0:1]
	v_mul_f64 v[12:13], v[130:131], s[34:35]
	v_fma_f64 v[18:19], s[8:9], v[72:73], v[16:17]
	v_fma_f64 v[16:17], v[72:73], s[8:9], -v[16:17]
	v_fmac_f64_e32 v[10:11], s[22:23], v[82:83]
	v_mul_f64 v[8:9], v[126:127], s[14:15]
	v_fma_f64 v[14:15], s[22:23], v[80:81], v[12:13]
	v_fma_f64 v[12:13], v[80:81], s[22:23], -v[12:13]
	v_add_f64 v[16:17], v[34:35], v[16:17]
	v_fmac_f64_e32 v[2:3], s[12:13], v[74:75]
	v_add_f64 v[0:1], v[10:11], v[0:1]
	v_mul_f64 v[6:7], v[128:129], s[28:29]
	v_fma_f64 v[10:11], s[12:13], v[122:123], v[8:9]
	v_fma_f64 v[8:9], v[122:123], s[12:13], -v[8:9]
	v_add_f64 v[12:13], v[12:13], v[16:17]
	v_add_f64 v[48:49], v[2:3], v[0:1]
	v_mul_f64 v[4:5], v[136:137], s[20:21]
	v_fma_f64 v[2:3], s[18:19], v[124:125], v[6:7]
	v_mul_f64 v[28:29], v[150:151], s[10:11]
	v_fma_f64 v[6:7], v[124:125], s[18:19], -v[6:7]
	v_add_f64 v[8:9], v[8:9], v[12:13]
	v_fma_f64 v[0:1], s[16:17], v[94:95], v[4:5]
	v_add_f64 v[18:19], v[34:35], v[18:19]
	v_mul_f64 v[24:25], v[148:149], s[34:35]
	v_fma_f64 v[30:31], v[116:117], s[8:9], -v[28:29]
	v_fma_f64 v[4:5], v[94:95], s[16:17], -v[4:5]
	v_add_f64 v[6:7], v[6:7], v[8:9]
	v_fmac_f64_e32 v[28:29], s[8:9], v[116:117]
	v_add_f64 v[14:15], v[14:15], v[18:19]
	v_mul_f64 v[20:21], v[146:147], s[14:15]
	v_fma_f64 v[26:27], v[114:115], s[22:23], -v[24:25]
	v_add_f64 v[30:31], v[32:33], v[30:31]
	v_add_f64 v[6:7], v[4:5], v[6:7]
	v_fmac_f64_e32 v[24:25], s[22:23], v[114:115]
	v_add_f64 v[4:5], v[32:33], v[28:29]
	s_mov_b32 s15, 0xbfed1bb4
	v_add_f64 v[10:11], v[10:11], v[14:15]
	v_mul_f64 v[14:15], v[144:145], s[28:29]
	v_fma_f64 v[22:23], v[112:113], s[12:13], -v[20:21]
	v_add_f64 v[26:27], v[26:27], v[30:31]
	v_fmac_f64_e32 v[20:21], s[12:13], v[112:113]
	v_add_f64 v[4:5], v[24:25], v[4:5]
	v_mul_f64 v[24:25], v[118:119], s[14:15]
	v_add_f64 v[2:3], v[2:3], v[10:11]
	v_mul_f64 v[10:11], v[138:139], s[20:21]
	v_fma_f64 v[18:19], v[82:83], s[18:19], -v[14:15]
	v_add_f64 v[22:23], v[22:23], v[26:27]
	v_add_f64 v[4:5], v[20:21], v[4:5]
	v_mul_f64 v[20:21], v[130:131], s[20:21]
	v_fma_f64 v[26:27], s[12:13], v[72:73], v[24:25]
	v_fma_f64 v[24:25], v[72:73], s[12:13], -v[24:25]
	v_add_f64 v[2:3], v[0:1], v[2:3]
	v_fma_f64 v[0:1], v[74:75], s[16:17], -v[10:11]
	v_add_f64 v[18:19], v[18:19], v[22:23]
	v_fmac_f64_e32 v[14:15], s[18:19], v[82:83]
	v_mul_f64 v[16:17], v[126:127], s[34:35]
	v_fma_f64 v[22:23], s[16:17], v[80:81], v[20:21]
	v_fma_f64 v[20:21], v[80:81], s[16:17], -v[20:21]
	v_add_f64 v[24:25], v[34:35], v[24:25]
	v_add_f64 v[0:1], v[0:1], v[18:19]
	v_fmac_f64_e32 v[10:11], s[16:17], v[74:75]
	v_add_f64 v[4:5], v[14:15], v[4:5]
	v_mul_f64 v[14:15], v[128:129], s[30:31]
	v_fma_f64 v[18:19], s[22:23], v[122:123], v[16:17]
	v_mul_f64 v[156:157], v[150:151], s[14:15]
	v_fma_f64 v[16:17], v[122:123], s[22:23], -v[16:17]
	v_add_f64 v[20:21], v[20:21], v[24:25]
	v_add_f64 v[4:5], v[10:11], v[4:5]
	v_mul_f64 v[12:13], v[136:137], s[26:27]
	v_fma_f64 v[10:11], s[8:9], v[124:125], v[14:15]
	v_mul_f64 v[142:143], v[148:149], s[20:21]
	v_fma_f64 v[154:155], v[116:117], s[12:13], -v[156:157]
	v_fma_f64 v[14:15], v[124:125], s[8:9], -v[14:15]
	v_add_f64 v[16:17], v[16:17], v[20:21]
	v_fma_f64 v[8:9], s[18:19], v[94:95], v[12:13]
	v_add_f64 v[26:27], v[34:35], v[26:27]
	v_fma_f64 v[152:153], v[114:115], s[16:17], -v[142:143]
	v_add_f64 v[154:155], v[32:33], v[154:155]
	v_fma_f64 v[12:13], v[94:95], s[18:19], -v[12:13]
	v_add_f64 v[14:15], v[14:15], v[16:17]
	v_fmac_f64_e32 v[156:157], s[12:13], v[116:117]
	v_add_f64 v[22:23], v[22:23], v[26:27]
	v_mul_f64 v[28:29], v[146:147], s[34:35]
	v_add_f64 v[152:153], v[152:153], v[154:155]
	v_add_f64 v[154:155], v[12:13], v[14:15]
	v_fmac_f64_e32 v[142:143], s[16:17], v[114:115]
	v_add_f64 v[12:13], v[32:33], v[156:157]
	v_add_f64 v[18:19], v[18:19], v[22:23]
	v_mul_f64 v[22:23], v[144:145], s[30:31]
	v_fma_f64 v[30:31], v[112:113], s[22:23], -v[28:29]
	v_fmac_f64_e32 v[28:29], s[22:23], v[112:113]
	v_add_f64 v[12:13], v[142:143], v[12:13]
	v_add_f64 v[10:11], v[10:11], v[18:19]
	v_mul_f64 v[18:19], v[138:139], s[26:27]
	v_fma_f64 v[26:27], v[82:83], s[8:9], -v[22:23]
	v_add_f64 v[30:31], v[30:31], v[152:153]
	v_add_f64 v[12:13], v[28:29], v[12:13]
	v_mul_f64 v[28:29], v[118:119], s[28:29]
	v_add_f64 v[10:11], v[8:9], v[10:11]
	v_fma_f64 v[8:9], v[74:75], s[18:19], -v[18:19]
	v_add_f64 v[26:27], v[26:27], v[30:31]
	v_mul_f64 v[24:25], v[130:131], s[14:15]
	v_fma_f64 v[30:31], s[18:19], v[72:73], v[28:29]
	v_add_f64 v[8:9], v[8:9], v[26:27]
	v_fmac_f64_e32 v[22:23], s[8:9], v[82:83]
	v_mul_f64 v[20:21], v[126:127], s[10:11]
	v_fma_f64 v[26:27], s[12:13], v[80:81], v[24:25]
	v_add_f64 v[30:31], v[34:35], v[30:31]
	v_fmac_f64_e32 v[18:19], s[18:19], v[74:75]
	v_add_f64 v[12:13], v[22:23], v[12:13]
	v_mul_f64 v[16:17], v[128:129], s[20:21]
	v_fma_f64 v[22:23], s[8:9], v[122:123], v[20:21]
	v_add_f64 v[26:27], v[26:27], v[30:31]
	v_add_f64 v[152:153], v[18:19], v[12:13]
	v_mul_f64 v[12:13], v[136:137], s[24:25]
	v_fma_f64 v[18:19], s[16:17], v[124:125], v[16:17]
	v_add_f64 v[22:23], v[22:23], v[26:27]
	v_fma_f64 v[14:15], s[22:23], v[94:95], v[12:13]
	v_add_f64 v[18:19], v[18:19], v[22:23]
	v_mul_f64 v[136:137], v[150:151], s[28:29]
	v_add_f64 v[128:129], v[14:15], v[18:19]
	v_mul_f64 v[14:15], v[138:139], s[24:25]
	v_mul_f64 v[130:131], v[148:149], s[14:15]
	v_fma_f64 v[138:139], v[116:117], s[18:19], -v[136:137]
	v_mul_f64 v[30:31], v[146:147], s[10:11]
	v_fma_f64 v[126:127], v[114:115], s[12:13], -v[130:131]
	v_add_f64 v[138:139], v[32:33], v[138:139]
	v_mul_f64 v[22:23], v[144:145], s[20:21]
	v_fma_f64 v[118:119], v[112:113], s[8:9], -v[30:31]
	v_add_f64 v[126:127], v[126:127], v[138:139]
	v_fma_f64 v[26:27], v[82:83], s[16:17], -v[22:23]
	v_add_f64 v[118:119], v[118:119], v[126:127]
	;; [unrolled: 2-line block ×3, first 2 shown]
	v_add_f64 v[126:127], v[18:19], v[26:27]
	v_fma_f64 v[18:19], v[122:123], s[8:9], -v[20:21]
	v_fma_f64 v[20:21], v[80:81], s[12:13], -v[24:25]
	;; [unrolled: 1-line block ×3, first 2 shown]
	v_add_f64 v[24:25], v[34:35], v[24:25]
	v_add_f64 v[20:21], v[20:21], v[24:25]
	v_fma_f64 v[16:17], v[124:125], s[16:17], -v[16:17]
	v_add_f64 v[18:19], v[18:19], v[20:21]
	v_fma_f64 v[12:13], v[94:95], s[22:23], -v[12:13]
	v_add_f64 v[16:17], v[16:17], v[18:19]
	v_fmac_f64_e32 v[136:137], s[18:19], v[116:117]
	v_add_f64 v[118:119], v[12:13], v[16:17]
	v_fmac_f64_e32 v[130:131], s[12:13], v[114:115]
	;; [unrolled: 2-line block ×5, first 2 shown]
	v_add_f64 v[12:13], v[22:23], v[12:13]
	v_add_f64 v[116:117], v[14:15], v[12:13]
	v_add_f64 v[12:13], v[34:35], v[58:59]
	v_add_f64 v[12:13], v[12:13], v[120:121]
	v_add_f64 v[12:13], v[12:13], v[86:87]
	v_add_f64 v[12:13], v[12:13], v[90:91]
	v_add_f64 v[12:13], v[12:13], v[92:93]
	v_add_f64 v[12:13], v[12:13], v[88:89]
	v_add_f64 v[12:13], v[12:13], v[70:71]
	v_add_f64 v[12:13], v[12:13], v[66:67]
	v_add_f64 v[12:13], v[12:13], v[62:63]
	v_add_f64 v[34:35], v[12:13], v[56:57]
	v_add_f64 v[12:13], v[32:33], v[78:79]
	v_add_f64 v[12:13], v[12:13], v[76:77]
	v_add_f64 v[12:13], v[12:13], v[84:85]
	v_add_f64 v[12:13], v[12:13], v[52:53]
	v_add_f64 v[12:13], v[12:13], v[132:133]
	v_add_f64 v[12:13], v[12:13], v[134:135]
	v_add_f64 v[12:13], v[12:13], v[54:55]
	v_add_f64 v[12:13], v[12:13], v[68:69]
	v_add_f64 v[12:13], v[12:13], v[64:65]
	v_add_f64 v[32:33], v[12:13], v[60:61]
	v_accvgpr_read_b32 v12, a68
	v_mul_u32_u24_e32 v12, 0x2c0, v12
	v_accvgpr_read_b32 v13, a1
	v_or_b32_e32 v12, v12, v13
	v_mov_b32_e32 v144, v141
	v_lshlrev_b32_e32 v12, 4, v12
	ds_write_b128 v12, v[32:35]
	ds_write_b128 v12, v[116:119] offset:1024
	ds_write_b128 v12, v[152:155] offset:2048
	;; [unrolled: 1-line block ×10, first 2 shown]
.LBB0_9:
	s_or_b64 exec, exec, s[0:1]
	s_waitcnt lgkmcnt(0)
	s_barrier
	ds_read_b128 v[0:3], v140
	ds_read_b128 v[4:7], v140 offset:2816
	ds_read_b128 v[8:11], v140 offset:11264
	ds_read_b128 v[36:39], v140 offset:14080
	ds_read_b128 v[40:43], v140 offset:5632
	ds_read_b128 v[44:47], v140 offset:8448
	ds_read_b128 v[48:51], v140 offset:16896
	ds_read_b128 v[52:55], v140 offset:19712
	s_waitcnt lgkmcnt(5)
	v_mul_f64 v[14:15], v[102:103], v[10:11]
	v_fmac_f64_e32 v[14:15], v[100:101], v[8:9]
	v_mul_f64 v[8:9], v[102:103], v[8:9]
	v_fma_f64 v[10:11], v[100:101], v[10:11], -v[8:9]
	s_waitcnt lgkmcnt(4)
	v_mul_f64 v[8:9], v[98:99], v[36:37]
	v_fma_f64 v[18:19], v[96:97], v[38:39], -v[8:9]
	s_waitcnt lgkmcnt(1)
	v_mul_f64 v[8:9], v[106:107], v[48:49]
	v_mul_f64 v[16:17], v[98:99], v[38:39]
	;; [unrolled: 1-line block ×3, first 2 shown]
	v_fma_f64 v[22:23], v[104:105], v[50:51], -v[8:9]
	s_waitcnt lgkmcnt(0)
	v_mul_f64 v[24:25], v[110:111], v[54:55]
	v_mul_f64 v[8:9], v[110:111], v[52:53]
	v_fmac_f64_e32 v[16:17], v[96:97], v[36:37]
	v_fmac_f64_e32 v[20:21], v[104:105], v[48:49]
	;; [unrolled: 1-line block ×3, first 2 shown]
	v_fma_f64 v[26:27], v[108:109], v[54:55], -v[8:9]
	v_add_f64 v[8:9], v[0:1], -v[14:15]
	v_add_f64 v[10:11], v[2:3], -v[10:11]
	v_fma_f64 v[0:1], v[0:1], 2.0, -v[8:9]
	v_fma_f64 v[2:3], v[2:3], 2.0, -v[10:11]
	v_add_f64 v[36:37], v[4:5], -v[16:17]
	v_add_f64 v[38:39], v[6:7], -v[18:19]
	;; [unrolled: 1-line block ×6, first 2 shown]
	v_accvgpr_read_b32 v28, a14
	v_fma_f64 v[4:5], v[4:5], 2.0, -v[36:37]
	v_fma_f64 v[6:7], v[6:7], 2.0, -v[38:39]
	v_fma_f64 v[40:41], v[40:41], 2.0, -v[48:49]
	v_fma_f64 v[42:43], v[42:43], 2.0, -v[50:51]
	v_fma_f64 v[44:45], v[44:45], 2.0, -v[52:53]
	v_fma_f64 v[46:47], v[46:47], 2.0, -v[54:55]
	ds_write_b128 v140, v[0:3]
	ds_write_b128 v140, v[8:11] offset:11264
	ds_write_b128 v140, v[4:7] offset:2816
	;; [unrolled: 1-line block ×7, first 2 shown]
	s_waitcnt lgkmcnt(0)
	s_barrier
	ds_read_b128 v[0:3], v140
	v_mad_u64_u32 v[34:35], s[0:1], s6, v28, 0
	v_mov_b32_e32 v12, v35
	v_mad_u64_u32 v[4:5], s[0:1], s7, v28, v[12:13]
	v_accvgpr_read_b32 v10, a28
	v_accvgpr_read_b32 v12, a30
	;; [unrolled: 1-line block ×3, first 2 shown]
	v_mov_b32_e32 v35, v4
	ds_read_b128 v[4:7], v140 offset:2816
	v_accvgpr_read_b32 v11, a29
	s_waitcnt lgkmcnt(1)
	v_mul_f64 v[8:9], v[12:13], v[2:3]
	v_fmac_f64_e32 v[8:9], v[10:11], v[0:1]
	s_mov_b32 s0, 0x745d1746
	v_mul_f64 v[0:1], v[12:13], v[0:1]
	v_mov_b32_e32 v32, s2
	v_mov_b32_e32 v33, s3
	s_mov_b32 s1, 0x3f4745d1
	v_fma_f64 v[0:1], v[10:11], v[2:3], -v[0:1]
	v_mad_u64_u32 v[12:13], s[2:3], s4, v144, 0
	v_mul_f64 v[10:11], v[0:1], s[0:1]
	v_mov_b32_e32 v0, v13
	v_mad_u64_u32 v[0:1], s[2:3], s5, v144, v[0:1]
	v_mov_b32_e32 v13, v0
	ds_read_b128 v[0:3], v140 offset:11264
	v_lshl_add_u64 v[14:15], v[34:35], 4, v[32:33]
	v_accvgpr_read_b32 v21, a5
	v_mul_f64 v[8:9], v[8:9], s[0:1]
	v_lshl_add_u64 v[16:17], v[12:13], 4, v[14:15]
	v_accvgpr_read_b32 v20, a4
	global_store_dwordx4 v[16:17], v[8:11], off
	ds_read_b128 v[8:11], v140 offset:14080
	v_accvgpr_read_b32 v19, a3
	v_accvgpr_read_b32 v18, a2
	s_waitcnt lgkmcnt(1)
	v_mul_f64 v[12:13], v[20:21], v[2:3]
	v_fmac_f64_e32 v[12:13], v[18:19], v[0:1]
	v_mul_f64 v[0:1], v[20:21], v[0:1]
	v_fma_f64 v[0:1], v[18:19], v[2:3], -v[0:1]
	v_mov_b32_e32 v18, 0x2c00
	v_mad_u64_u32 v[16:17], s[2:3], s4, v18, v[16:17]
	s_mul_i32 s6, s5, 0x2c00
	v_mul_f64 v[12:13], v[12:13], s[0:1]
	v_mul_f64 v[14:15], v[0:1], s[0:1]
	v_add_u32_e32 v17, s6, v17
	global_store_dwordx4 v[16:17], v[12:15], off
	v_mov_b32_e32 v19, 0xffffdf00
	v_accvgpr_read_b32 v23, a13
	v_accvgpr_read_b32 v12, a16
	;; [unrolled: 1-line block ×5, first 2 shown]
	v_mul_f64 v[0:1], v[14:15], v[6:7]
	v_mul_f64 v[2:3], v[14:15], v[4:5]
	v_fmac_f64_e32 v[0:1], v[12:13], v[4:5]
	v_fma_f64 v[2:3], v[12:13], v[6:7], -v[2:3]
	v_mad_u64_u32 v[12:13], s[2:3], s4, v19, v[16:17]
	s_mul_i32 s2, s5, 0xffffdf00
	s_sub_i32 s5, s2, s4
	v_accvgpr_read_b32 v4, a32
	v_mul_f64 v[0:1], v[0:1], s[0:1]
	v_mul_f64 v[2:3], v[2:3], s[0:1]
	v_add_u32_e32 v13, s5, v13
	v_accvgpr_read_b32 v6, a34
	v_accvgpr_read_b32 v7, a35
	global_store_dwordx4 v[12:13], v[0:3], off
	v_accvgpr_read_b32 v5, a33
	v_mad_u64_u32 v[12:13], s[2:3], s4, v18, v[12:13]
	s_waitcnt lgkmcnt(0)
	v_mul_f64 v[0:1], v[6:7], v[10:11]
	v_mul_f64 v[2:3], v[6:7], v[8:9]
	v_fmac_f64_e32 v[0:1], v[4:5], v[8:9]
	v_fma_f64 v[2:3], v[4:5], v[10:11], -v[2:3]
	ds_read_b128 v[4:7], v140 offset:5632
	v_accvgpr_read_b32 v17, a9
	v_mul_f64 v[0:1], v[0:1], s[0:1]
	v_mul_f64 v[2:3], v[2:3], s[0:1]
	v_add_u32_e32 v13, s6, v13
	v_accvgpr_read_b32 v16, a8
	global_store_dwordx4 v[12:13], v[0:3], off
	ds_read_b128 v[0:3], v140 offset:8448
	v_accvgpr_read_b32 v15, a7
	v_accvgpr_read_b32 v14, a6
	s_waitcnt lgkmcnt(1)
	v_mul_f64 v[8:9], v[16:17], v[6:7]
	v_fmac_f64_e32 v[8:9], v[14:15], v[4:5]
	v_mul_f64 v[4:5], v[16:17], v[4:5]
	v_fma_f64 v[4:5], v[14:15], v[6:7], -v[4:5]
	v_mul_f64 v[10:11], v[4:5], s[0:1]
	ds_read_b128 v[4:7], v140 offset:16896
	v_mad_u64_u32 v[16:17], s[2:3], s4, v19, v[12:13]
	v_mul_f64 v[8:9], v[8:9], s[0:1]
	v_add_u32_e32 v17, s5, v17
	v_accvgpr_read_b32 v22, a12
	global_store_dwordx4 v[16:17], v[8:11], off
	ds_read_b128 v[8:11], v140 offset:19712
	v_accvgpr_read_b32 v21, a11
	v_accvgpr_read_b32 v20, a10
	s_waitcnt lgkmcnt(1)
	v_mul_f64 v[12:13], v[22:23], v[6:7]
	v_fmac_f64_e32 v[12:13], v[20:21], v[4:5]
	v_mul_f64 v[4:5], v[22:23], v[4:5]
	v_fma_f64 v[4:5], v[20:21], v[6:7], -v[4:5]
	v_mad_u64_u32 v[16:17], s[2:3], s4, v18, v[16:17]
	v_mul_f64 v[12:13], v[12:13], s[0:1]
	v_mul_f64 v[14:15], v[4:5], s[0:1]
	v_add_u32_e32 v17, s6, v17
	global_store_dwordx4 v[16:17], v[12:15], off
	s_nop 1
	v_accvgpr_read_b32 v12, a20
	v_accvgpr_read_b32 v14, a22
	;; [unrolled: 1-line block ×4, first 2 shown]
	v_mul_f64 v[4:5], v[14:15], v[2:3]
	v_fmac_f64_e32 v[4:5], v[12:13], v[0:1]
	v_mul_f64 v[0:1], v[14:15], v[0:1]
	v_fma_f64 v[0:1], v[12:13], v[2:3], -v[0:1]
	v_mad_u64_u32 v[12:13], s[2:3], s4, v19, v[16:17]
	v_mul_f64 v[4:5], v[4:5], s[0:1]
	v_mul_f64 v[6:7], v[0:1], s[0:1]
	v_add_u32_e32 v13, s5, v13
	global_store_dwordx4 v[12:13], v[4:7], off
	s_nop 1
	v_accvgpr_read_b32 v4, a24
	v_accvgpr_read_b32 v6, a26
	;; [unrolled: 1-line block ×4, first 2 shown]
	s_waitcnt lgkmcnt(0)
	v_mul_f64 v[0:1], v[6:7], v[10:11]
	v_mul_f64 v[2:3], v[6:7], v[8:9]
	v_fmac_f64_e32 v[0:1], v[4:5], v[8:9]
	v_fma_f64 v[2:3], v[4:5], v[10:11], -v[2:3]
	v_mul_f64 v[0:1], v[0:1], s[0:1]
	v_mul_f64 v[2:3], v[2:3], s[0:1]
	v_mad_u64_u32 v[4:5], s[0:1], s4, v18, v[12:13]
	v_add_u32_e32 v5, s6, v5
	global_store_dwordx4 v[4:5], v[0:3], off
.LBB0_10:
	s_endpgm
	.section	.rodata,"a",@progbits
	.p2align	6, 0x0
	.amdhsa_kernel bluestein_single_back_len1408_dim1_dp_op_CI_CI
		.amdhsa_group_segment_fixed_size 22528
		.amdhsa_private_segment_fixed_size 0
		.amdhsa_kernarg_size 104
		.amdhsa_user_sgpr_count 2
		.amdhsa_user_sgpr_dispatch_ptr 0
		.amdhsa_user_sgpr_queue_ptr 0
		.amdhsa_user_sgpr_kernarg_segment_ptr 1
		.amdhsa_user_sgpr_dispatch_id 0
		.amdhsa_user_sgpr_kernarg_preload_length 0
		.amdhsa_user_sgpr_kernarg_preload_offset 0
		.amdhsa_user_sgpr_private_segment_size 0
		.amdhsa_uses_dynamic_stack 0
		.amdhsa_enable_private_segment 0
		.amdhsa_system_sgpr_workgroup_id_x 1
		.amdhsa_system_sgpr_workgroup_id_y 0
		.amdhsa_system_sgpr_workgroup_id_z 0
		.amdhsa_system_sgpr_workgroup_info 0
		.amdhsa_system_vgpr_workitem_id 0
		.amdhsa_next_free_vgpr 370
		.amdhsa_next_free_sgpr 44
		.amdhsa_accum_offset 256
		.amdhsa_reserve_vcc 1
		.amdhsa_float_round_mode_32 0
		.amdhsa_float_round_mode_16_64 0
		.amdhsa_float_denorm_mode_32 3
		.amdhsa_float_denorm_mode_16_64 3
		.amdhsa_dx10_clamp 1
		.amdhsa_ieee_mode 1
		.amdhsa_fp16_overflow 0
		.amdhsa_tg_split 0
		.amdhsa_exception_fp_ieee_invalid_op 0
		.amdhsa_exception_fp_denorm_src 0
		.amdhsa_exception_fp_ieee_div_zero 0
		.amdhsa_exception_fp_ieee_overflow 0
		.amdhsa_exception_fp_ieee_underflow 0
		.amdhsa_exception_fp_ieee_inexact 0
		.amdhsa_exception_int_div_zero 0
	.end_amdhsa_kernel
	.text
.Lfunc_end0:
	.size	bluestein_single_back_len1408_dim1_dp_op_CI_CI, .Lfunc_end0-bluestein_single_back_len1408_dim1_dp_op_CI_CI
                                        ; -- End function
	.section	.AMDGPU.csdata,"",@progbits
; Kernel info:
; codeLenInByte = 16252
; NumSgprs: 50
; NumVgprs: 256
; NumAgprs: 114
; TotalNumVgprs: 370
; ScratchSize: 0
; MemoryBound: 0
; FloatMode: 240
; IeeeMode: 1
; LDSByteSize: 22528 bytes/workgroup (compile time only)
; SGPRBlocks: 6
; VGPRBlocks: 46
; NumSGPRsForWavesPerEU: 50
; NumVGPRsForWavesPerEU: 370
; AccumOffset: 256
; Occupancy: 1
; WaveLimiterHint : 1
; COMPUTE_PGM_RSRC2:SCRATCH_EN: 0
; COMPUTE_PGM_RSRC2:USER_SGPR: 2
; COMPUTE_PGM_RSRC2:TRAP_HANDLER: 0
; COMPUTE_PGM_RSRC2:TGID_X_EN: 1
; COMPUTE_PGM_RSRC2:TGID_Y_EN: 0
; COMPUTE_PGM_RSRC2:TGID_Z_EN: 0
; COMPUTE_PGM_RSRC2:TIDIG_COMP_CNT: 0
; COMPUTE_PGM_RSRC3_GFX90A:ACCUM_OFFSET: 63
; COMPUTE_PGM_RSRC3_GFX90A:TG_SPLIT: 0
	.text
	.p2alignl 6, 3212836864
	.fill 256, 4, 3212836864
	.type	__hip_cuid_ab413f684e0f2fc5,@object ; @__hip_cuid_ab413f684e0f2fc5
	.section	.bss,"aw",@nobits
	.globl	__hip_cuid_ab413f684e0f2fc5
__hip_cuid_ab413f684e0f2fc5:
	.byte	0                               ; 0x0
	.size	__hip_cuid_ab413f684e0f2fc5, 1

	.ident	"AMD clang version 19.0.0git (https://github.com/RadeonOpenCompute/llvm-project roc-6.4.0 25133 c7fe45cf4b819c5991fe208aaa96edf142730f1d)"
	.section	".note.GNU-stack","",@progbits
	.addrsig
	.addrsig_sym __hip_cuid_ab413f684e0f2fc5
	.amdgpu_metadata
---
amdhsa.kernels:
  - .agpr_count:     114
    .args:
      - .actual_access:  read_only
        .address_space:  global
        .offset:         0
        .size:           8
        .value_kind:     global_buffer
      - .actual_access:  read_only
        .address_space:  global
        .offset:         8
        .size:           8
        .value_kind:     global_buffer
      - .actual_access:  read_only
        .address_space:  global
        .offset:         16
        .size:           8
        .value_kind:     global_buffer
      - .actual_access:  read_only
        .address_space:  global
        .offset:         24
        .size:           8
        .value_kind:     global_buffer
      - .actual_access:  read_only
        .address_space:  global
        .offset:         32
        .size:           8
        .value_kind:     global_buffer
      - .offset:         40
        .size:           8
        .value_kind:     by_value
      - .address_space:  global
        .offset:         48
        .size:           8
        .value_kind:     global_buffer
      - .address_space:  global
        .offset:         56
        .size:           8
        .value_kind:     global_buffer
      - .address_space:  global
        .offset:         64
        .size:           8
        .value_kind:     global_buffer
      - .address_space:  global
        .offset:         72
        .size:           8
        .value_kind:     global_buffer
      - .offset:         80
        .size:           4
        .value_kind:     by_value
      - .address_space:  global
        .offset:         88
        .size:           8
        .value_kind:     global_buffer
      - .address_space:  global
        .offset:         96
        .size:           8
        .value_kind:     global_buffer
    .group_segment_fixed_size: 22528
    .kernarg_segment_align: 8
    .kernarg_segment_size: 104
    .language:       OpenCL C
    .language_version:
      - 2
      - 0
    .max_flat_workgroup_size: 176
    .name:           bluestein_single_back_len1408_dim1_dp_op_CI_CI
    .private_segment_fixed_size: 0
    .sgpr_count:     50
    .sgpr_spill_count: 0
    .symbol:         bluestein_single_back_len1408_dim1_dp_op_CI_CI.kd
    .uniform_work_group_size: 1
    .uses_dynamic_stack: false
    .vgpr_count:     370
    .vgpr_spill_count: 0
    .wavefront_size: 64
amdhsa.target:   amdgcn-amd-amdhsa--gfx950
amdhsa.version:
  - 1
  - 2
...

	.end_amdgpu_metadata
